;; amdgpu-corpus repo=ROCm/bitsandbytes kind=harvested arch=n/a opt=n/a
	.text
	.amdgcn_target "amdgcn-amd-amdhsa--gfx1100"
	.amdhsa_code_object_version 6
	.protected	_Z35kOptimizerStatic8bit2StateBlockwiseI12hip_bfloat16Li6ELi256ELi1EEvPT_S2_PhS3_fffffifPfS4_S4_S4_ffbi ; -- Begin function _Z35kOptimizerStatic8bit2StateBlockwiseI12hip_bfloat16Li6ELi256ELi1EEvPT_S2_PhS3_fffffifPfS4_S4_S4_ffbi
	.globl	_Z35kOptimizerStatic8bit2StateBlockwiseI12hip_bfloat16Li6ELi256ELi1EEvPT_S2_PhS3_fffffifPfS4_S4_S4_ffbi
	.p2align	8
	.type	_Z35kOptimizerStatic8bit2StateBlockwiseI12hip_bfloat16Li6ELi256ELi1EEvPT_S2_PhS3_fffffifPfS4_S4_S4_ffbi,@function
_Z35kOptimizerStatic8bit2StateBlockwiseI12hip_bfloat16Li6ELi256ELi1EEvPT_S2_PhS3_fffffifPfS4_S4_S4_ffbi: ; @_Z35kOptimizerStatic8bit2StateBlockwiseI12hip_bfloat16Li6ELi256ELi1EEvPT_S2_PhS3_fffffifPfS4_S4_S4_ffbi
; %bb.0:
	s_clause 0x2
	s_load_b256 s[16:23], s[0:1], 0x20
	s_load_b128 s[4:7], s[0:1], 0x40
	s_load_b32 s8, s[0:1], 0x70
	s_lshl_b32 s34, s15, 8
	s_mov_b32 s35, 0
	v_lshlrev_b32_e32 v14, 2, v0
	s_waitcnt lgkmcnt(0)
	s_clause 0x1
	global_load_b32 v15, v14, s[4:5]
	global_load_b32 v17, v14, s[6:7]
	v_cvt_f32_i32_e32 v1, s21
	v_cmp_neq_f32_e64 vcc_lo, s16, 1.0
	s_mov_b32 s5, 0x3e76c4e1
	s_lshl_b32 s21, s8, 8
	s_waitcnt vmcnt(1)
	ds_store_b32 v14, v15
	ds_store_b32 v14, v15 offset:1028
	s_waitcnt vmcnt(0)
	ds_store_b32 v14, v17 offset:2064
	ds_store_b32 v14, v17 offset:3092
	v_cndmask_b32_e32 v9, 1.0, v1, vcc_lo
	v_cmp_neq_f32_e64 vcc_lo, s17, 1.0
	s_cmp_ge_u32 s34, s21
	s_waitcnt lgkmcnt(0)
	s_barrier
	v_cmp_gt_f32_e64 s12, 0, v9
	v_cndmask_b32_e32 v11, 1.0, v1, vcc_lo
	v_cmp_eq_f32_e32 vcc_lo, 0, v9
	buffer_gl0_inv
	v_cmp_eq_f32_e64 s2, 0, v11
	v_cndmask_b32_e64 v2, |s16|, 1.0, vcc_lo
	s_delay_alu instid0(VALU_DEP_2) | instskip(NEXT) | instid1(VALU_DEP_2)
	v_cndmask_b32_e64 v1, |s17|, 1.0, s2
	v_frexp_mant_f32_e32 v3, v2
	s_delay_alu instid0(VALU_DEP_2) | instskip(NEXT) | instid1(VALU_DEP_2)
	v_frexp_mant_f32_e32 v4, v1
	v_cmp_gt_f32_e64 s3, 0x3f2aaaab, v3
	s_delay_alu instid0(VALU_DEP_2) | instskip(NEXT) | instid1(VALU_DEP_2)
	v_cmp_gt_f32_e64 s4, 0x3f2aaaab, v4
	v_cndmask_b32_e64 v5, 1.0, 2.0, s3
	s_delay_alu instid0(VALU_DEP_2) | instskip(NEXT) | instid1(VALU_DEP_1)
	v_cndmask_b32_e64 v6, 1.0, 2.0, s4
	v_dual_mul_f32 v4, v4, v6 :: v_dual_mul_f32 v3, v3, v5
	v_cmp_gt_f32_e64 s11, 0, v11
	s_delay_alu instid0(VALU_DEP_2) | instskip(SKIP_2) | instid1(VALU_DEP_3)
	v_dual_add_f32 v6, 1.0, v4 :: v_dual_add_f32 v5, 1.0, v3
	v_add_f32_e32 v12, -1.0, v4
	v_add_f32_e32 v10, -1.0, v3
	v_rcp_f32_e32 v8, v6
	s_delay_alu instid0(VALU_DEP_3) | instskip(SKIP_2) | instid1(VALU_DEP_1)
	v_rcp_f32_e32 v7, v5
	s_waitcnt_depctr 0xfff
	v_dual_mul_f32 v16, v12, v8 :: v_dual_mul_f32 v13, v10, v7
	v_dual_add_f32 v18, -1.0, v5 :: v_dual_mul_f32 v21, v6, v16
	s_delay_alu instid0(VALU_DEP_2) | instskip(NEXT) | instid1(VALU_DEP_2)
	v_mul_f32_e32 v19, v5, v13
	v_sub_f32_e32 v3, v3, v18
	s_delay_alu instid0(VALU_DEP_2) | instskip(SKIP_2) | instid1(VALU_DEP_2)
	v_fma_f32 v5, v13, v5, -v19
	v_add_f32_e32 v20, -1.0, v6
	v_fma_f32 v6, v16, v6, -v21
	v_dual_fmac_f32 v5, v13, v3 :: v_dual_sub_f32 v4, v4, v20
	s_delay_alu instid0(VALU_DEP_1) | instskip(NEXT) | instid1(VALU_DEP_1)
	v_dual_add_f32 v3, v19, v5 :: v_dual_fmac_f32 v6, v16, v4
	v_dual_sub_f32 v19, v3, v19 :: v_dual_add_f32 v4, v21, v6
	s_delay_alu instid0(VALU_DEP_1) | instskip(NEXT) | instid1(VALU_DEP_2)
	v_dual_sub_f32 v18, v10, v3 :: v_dual_sub_f32 v5, v19, v5
	v_sub_f32_e32 v21, v4, v21
	v_sub_f32_e32 v20, v12, v4
	s_delay_alu instid0(VALU_DEP_3) | instskip(NEXT) | instid1(VALU_DEP_1)
	v_sub_f32_e32 v10, v10, v18
	v_dual_sub_f32 v12, v12, v20 :: v_dual_sub_f32 v3, v10, v3
	s_delay_alu instid0(VALU_DEP_1) | instskip(NEXT) | instid1(VALU_DEP_1)
	v_add_f32_e32 v3, v5, v3
	v_dual_sub_f32 v6, v21, v6 :: v_dual_add_f32 v3, v18, v3
	s_delay_alu instid0(VALU_DEP_1) | instskip(NEXT) | instid1(VALU_DEP_1)
	v_dual_sub_f32 v4, v12, v4 :: v_dual_mul_f32 v7, v7, v3
	v_add_f32_e32 v10, v13, v7
	s_delay_alu instid0(VALU_DEP_1) | instskip(NEXT) | instid1(VALU_DEP_3)
	v_sub_f32_e32 v13, v10, v13
	v_add_f32_e32 v4, v6, v4
	v_cvt_f64_f32_e32 v[5:6], v1
	s_delay_alu instid0(VALU_DEP_2) | instskip(NEXT) | instid1(VALU_DEP_1)
	v_dual_sub_f32 v7, v7, v13 :: v_dual_add_f32 v4, v20, v4
	v_dual_add_f32 v19, v7, v7 :: v_dual_mul_f32 v8, v8, v4
	v_cvt_f64_f32_e32 v[3:4], v2
	s_delay_alu instid0(VALU_DEP_2) | instskip(NEXT) | instid1(VALU_DEP_1)
	v_add_f32_e32 v12, v16, v8
	v_sub_f32_e32 v16, v12, v16
	v_mul_f32_e32 v13, v12, v12
	s_delay_alu instid0(VALU_DEP_2) | instskip(SKIP_1) | instid1(VALU_DEP_3)
	v_sub_f32_e32 v8, v8, v16
	v_mul_f32_e32 v18, v10, v10
	v_fma_f32 v20, v12, v12, -v13
	s_delay_alu instid0(VALU_DEP_3) | instskip(NEXT) | instid1(VALU_DEP_3)
	v_add_f32_e32 v21, v8, v8
	v_fma_f32 v16, v10, v10, -v18
	s_delay_alu instid0(VALU_DEP_2) | instskip(NEXT) | instid1(VALU_DEP_2)
	v_fmac_f32_e32 v20, v12, v21
	v_fmac_f32_e32 v16, v10, v19
	v_frexp_exp_i32_f64_e32 v5, v[5:6]
	s_delay_alu instid0(VALU_DEP_3) | instskip(NEXT) | instid1(VALU_DEP_3)
	v_add_f32_e32 v21, v13, v20
	v_add_f32_e32 v19, v18, v16
	s_delay_alu instid0(VALU_DEP_2) | instskip(SKIP_2) | instid1(VALU_DEP_3)
	v_fmaak_f32 v23, s5, v21, 0x3e91f4c4
	v_sub_f32_e32 v13, v21, v13
	v_frexp_exp_i32_f64_e32 v3, v[3:4]
	v_fmaak_f32 v4, v21, v23, 0x3ecccdef
	s_delay_alu instid0(VALU_DEP_3) | instskip(NEXT) | instid1(VALU_DEP_2)
	v_sub_f32_e32 v6, v20, v13
	v_mul_f32_e32 v24, v21, v4
	s_delay_alu instid0(VALU_DEP_1) | instskip(NEXT) | instid1(VALU_DEP_1)
	v_fma_f32 v13, v21, v4, -v24
	v_dual_fmaak_f32 v22, s5, v19, 0x3e91f4c4 :: v_dual_fmac_f32 v13, v6, v4
	s_delay_alu instid0(VALU_DEP_1) | instskip(NEXT) | instid1(VALU_DEP_1)
	v_dual_fmaak_f32 v22, v19, v22, 0x3ecccdef :: v_dual_add_f32 v25, v24, v13
	v_mul_f32_e32 v23, v19, v22
	s_delay_alu instid0(VALU_DEP_2) | instskip(SKIP_1) | instid1(VALU_DEP_2)
	v_dual_sub_f32 v18, v19, v18 :: v_dual_add_f32 v29, 0x3f2aaaaa, v25
	v_mul_f32_e32 v4, v10, v19
	v_sub_f32_e32 v16, v16, v18
	s_delay_alu instid0(VALU_DEP_4) | instskip(NEXT) | instid1(VALU_DEP_3)
	v_fma_f32 v18, v19, v22, -v23
	v_fma_f32 v26, v19, v10, -v4
	s_delay_alu instid0(VALU_DEP_1) | instskip(SKIP_1) | instid1(VALU_DEP_4)
	v_dual_fmac_f32 v26, v19, v7 :: v_dual_add_f32 v19, 0xbf2aaaaa, v29
	v_sub_f32_e32 v24, v25, v24
	v_fmac_f32_e32 v18, v16, v22
	v_mul_f32_e32 v22, v12, v21
	v_ldexp_f32 v7, v7, 1
	v_subrev_co_ci_u32_e64 v3, s3, 0, v3, s3
	s_delay_alu instid0(VALU_DEP_4) | instskip(NEXT) | instid1(VALU_DEP_4)
	v_dual_sub_f32 v13, v13, v24 :: v_dual_add_f32 v20, v23, v18
	v_fma_f32 v28, v21, v12, -v22
	v_subrev_co_ci_u32_e64 v5, s3, 0, v5, s4
	s_delay_alu instid0(VALU_DEP_3) | instskip(NEXT) | instid1(VALU_DEP_4)
	v_add_f32_e32 v13, 0x31739010, v13
	v_sub_f32_e32 v23, v20, v23
	v_dual_add_f32 v27, 0x3f2aaaaa, v20 :: v_dual_fmac_f32 v26, v16, v10
	v_ldexp_f32 v10, v10, 1
	v_fmac_f32_e32 v28, v21, v8
	s_delay_alu instid0(VALU_DEP_4) | instskip(NEXT) | instid1(VALU_DEP_4)
	v_sub_f32_e32 v18, v18, v23
	v_add_f32_e32 v23, 0xbf2aaaaa, v27
	v_cvt_f32_i32_e32 v5, v5
	v_cvt_f32_i32_e32 v3, v3
	v_fmac_f32_e32 v28, v6, v12
	v_sub_f32_e32 v16, v25, v19
	v_sub_f32_e32 v20, v20, v23
	v_ldexp_f32 v12, v12, 1
	v_ldexp_f32 v8, v8, 1
	s_delay_alu instid0(VALU_DEP_4) | instskip(NEXT) | instid1(VALU_DEP_1)
	v_dual_add_f32 v6, v13, v16 :: v_dual_add_f32 v13, v4, v26
	v_add_f32_e32 v19, v29, v6
	v_add_f32_e32 v18, 0x31739010, v18
	s_delay_alu instid0(VALU_DEP_3) | instskip(NEXT) | instid1(VALU_DEP_2)
	v_sub_f32_e32 v4, v13, v4
	v_add_f32_e32 v18, v18, v20
	s_delay_alu instid0(VALU_DEP_2) | instskip(NEXT) | instid1(VALU_DEP_2)
	v_sub_f32_e32 v4, v26, v4
	v_add_f32_e32 v16, v27, v18
	s_delay_alu instid0(VALU_DEP_1) | instskip(NEXT) | instid1(VALU_DEP_1)
	v_sub_f32_e32 v21, v27, v16
	v_dual_mul_f32 v23, v13, v16 :: v_dual_add_f32 v18, v18, v21
	s_delay_alu instid0(VALU_DEP_1) | instskip(NEXT) | instid1(VALU_DEP_1)
	v_fma_f32 v21, v13, v16, -v23
	v_fmac_f32_e32 v21, v13, v18
	s_delay_alu instid0(VALU_DEP_1) | instskip(SKIP_1) | instid1(VALU_DEP_2)
	v_dual_sub_f32 v24, v29, v19 :: v_dual_fmac_f32 v21, v4, v16
	v_mul_f32_e32 v4, 0x3f317218, v3
	v_add_f32_e32 v6, v6, v24
	s_delay_alu instid0(VALU_DEP_2) | instskip(NEXT) | instid1(VALU_DEP_1)
	v_fma_f32 v18, 0x3f317218, v3, -v4
	v_fmac_f32_e32 v18, 0xb102e308, v3
	v_add_f32_e32 v20, v22, v28
	s_delay_alu instid0(VALU_DEP_1) | instskip(SKIP_1) | instid1(VALU_DEP_2)
	v_mul_f32_e32 v25, v20, v19
	v_sub_f32_e32 v22, v20, v22
	v_fma_f32 v24, v20, v19, -v25
	s_delay_alu instid0(VALU_DEP_2) | instskip(NEXT) | instid1(VALU_DEP_2)
	v_sub_f32_e32 v13, v28, v22
	v_fmac_f32_e32 v24, v20, v6
	v_mul_f32_e32 v6, 0x3f317218, v5
	s_delay_alu instid0(VALU_DEP_2) | instskip(NEXT) | instid1(VALU_DEP_1)
	v_dual_fmac_f32 v24, v13, v19 :: v_dual_add_f32 v13, v23, v21
	v_add_f32_e32 v16, v25, v24
	s_delay_alu instid0(VALU_DEP_2) | instskip(NEXT) | instid1(VALU_DEP_2)
	v_dual_sub_f32 v20, v13, v23 :: v_dual_add_f32 v19, v10, v13
	v_add_f32_e32 v22, v12, v16
	s_delay_alu instid0(VALU_DEP_2) | instskip(NEXT) | instid1(VALU_DEP_3)
	v_dual_sub_f32 v23, v16, v25 :: v_dual_sub_f32 v20, v21, v20
	v_sub_f32_e32 v10, v19, v10
	s_delay_alu instid0(VALU_DEP_2) | instskip(SKIP_1) | instid1(VALU_DEP_3)
	v_dual_sub_f32 v12, v22, v12 :: v_dual_sub_f32 v21, v24, v23
	v_fma_f32 v23, 0x3f317218, v5, -v6
	v_dual_sub_f32 v10, v13, v10 :: v_dual_add_f32 v7, v7, v20
	s_delay_alu instid0(VALU_DEP_3) | instskip(NEXT) | instid1(VALU_DEP_4)
	v_sub_f32_e32 v12, v16, v12
	v_add_f32_e32 v8, v8, v21
	s_delay_alu instid0(VALU_DEP_4) | instskip(NEXT) | instid1(VALU_DEP_4)
	v_fmac_f32_e32 v23, 0xb102e308, v5
	v_add_f32_e32 v3, v7, v10
	s_delay_alu instid0(VALU_DEP_2) | instskip(NEXT) | instid1(VALU_DEP_2)
	v_dual_add_f32 v5, v8, v12 :: v_dual_add_f32 v10, v6, v23
	v_add_f32_e32 v8, v19, v3
	s_delay_alu instid0(VALU_DEP_1) | instskip(NEXT) | instid1(VALU_DEP_1)
	v_dual_add_f32 v12, v22, v5 :: v_dual_sub_f32 v19, v8, v19
	v_dual_add_f32 v16, v10, v12 :: v_dual_sub_f32 v21, v12, v22
	s_delay_alu instid0(VALU_DEP_1) | instskip(NEXT) | instid1(VALU_DEP_2)
	v_dual_sub_f32 v3, v3, v19 :: v_dual_sub_f32 v20, v16, v10
	v_sub_f32_e32 v5, v5, v21
	s_delay_alu instid0(VALU_DEP_2) | instskip(SKIP_2) | instid1(VALU_DEP_2)
	v_sub_f32_e32 v19, v16, v20
	v_add_f32_e32 v7, v4, v18
	v_sub_f32_e32 v12, v12, v20
	v_sub_f32_e32 v4, v7, v4
	v_add_f32_e32 v13, v7, v8
	s_delay_alu instid0(VALU_DEP_2) | instskip(NEXT) | instid1(VALU_DEP_2)
	v_sub_f32_e32 v4, v18, v4
	v_sub_f32_e32 v18, v13, v7
	s_delay_alu instid0(VALU_DEP_1) | instskip(SKIP_1) | instid1(VALU_DEP_2)
	v_sub_f32_e32 v22, v13, v18
	v_sub_f32_e32 v8, v8, v18
	v_dual_add_f32 v18, v4, v3 :: v_dual_sub_f32 v7, v7, v22
	s_delay_alu instid0(VALU_DEP_1) | instskip(SKIP_1) | instid1(VALU_DEP_2)
	v_dual_add_f32 v7, v8, v7 :: v_dual_sub_f32 v6, v10, v6
	v_sub_f32_e32 v10, v10, v19
	v_dual_add_f32 v7, v18, v7 :: v_dual_sub_f32 v6, v23, v6
	s_delay_alu instid0(VALU_DEP_2) | instskip(SKIP_1) | instid1(VALU_DEP_3)
	v_add_f32_e32 v10, v12, v10
	v_sub_f32_e32 v12, v18, v4
	v_add_f32_e32 v8, v6, v5
	s_delay_alu instid0(VALU_DEP_2) | instskip(SKIP_1) | instid1(VALU_DEP_3)
	v_sub_f32_e32 v18, v18, v12
	v_dual_sub_f32 v3, v3, v12 :: v_dual_add_f32 v12, v13, v7
	v_sub_f32_e32 v19, v8, v6
	v_add_f32_e32 v10, v8, v10
	s_delay_alu instid0(VALU_DEP_4)
	v_sub_f32_e32 v4, v4, v18
	v_trunc_f32_e32 v18, v11
	v_sub_f32_e32 v13, v12, v13
	v_sub_f32_e32 v8, v8, v19
	v_dual_add_f32 v20, v16, v10 :: v_dual_sub_f32 v5, v5, v19
	v_add_f32_e32 v3, v3, v4
	s_delay_alu instid0(VALU_DEP_4) | instskip(NEXT) | instid1(VALU_DEP_4)
	v_sub_f32_e32 v4, v7, v13
	v_sub_f32_e32 v6, v6, v8
	s_delay_alu instid0(VALU_DEP_4) | instskip(SKIP_3) | instid1(VALU_DEP_4)
	v_sub_f32_e32 v8, v20, v16
	v_trunc_f32_e32 v13, v9
	v_mul_f32_e32 v19, 0.5, v11
	v_add_f32_e32 v3, v3, v4
	v_dual_add_f32 v5, v5, v6 :: v_dual_sub_f32 v6, v10, v8
	v_cmp_eq_f32_e64 s6, v18, v11
	v_mul_f32_e32 v16, 0.5, v9
	s_delay_alu instid0(VALU_DEP_3) | instskip(NEXT) | instid1(VALU_DEP_1)
	v_dual_add_f32 v4, v5, v6 :: v_dual_add_f32 v5, v12, v3
	v_add_f32_e32 v7, v20, v4
	s_delay_alu instid0(VALU_DEP_2) | instskip(SKIP_1) | instid1(VALU_DEP_3)
	v_sub_f32_e32 v6, v5, v12
	v_mul_f32_e32 v10, v9, v5
	v_sub_f32_e32 v12, v7, v20
	v_mul_f32_e32 v8, v11, v7
	s_delay_alu instid0(VALU_DEP_4) | instskip(NEXT) | instid1(VALU_DEP_4)
	v_sub_f32_e32 v3, v3, v6
	v_fma_f32 v6, v9, v5, -v10
	v_cndmask_b32_e64 v5, s16, 1.0, vcc_lo
	v_sub_f32_e32 v4, v4, v12
	v_fma_f32 v7, v11, v7, -v8
	v_cmp_eq_f32_e32 vcc_lo, v13, v9
	v_fmac_f32_e32 v6, v9, v3
	v_cndmask_b32_e64 v3, s17, 1.0, s2
	v_cmp_class_f32_e64 s2, v10, 0x204
	v_fmac_f32_e32 v7, v11, v4
	v_trunc_f32_e32 v4, v19
	v_add_f32_e32 v12, v10, v6
	v_trunc_f32_e32 v9, v16
	v_cmp_eq_f32_e64 s7, 0, v3
	v_add_f32_e32 v11, v8, v7
	v_cmp_neq_f32_e64 s13, v4, v19
	v_cndmask_b32_e64 v13, v12, v10, s2
	v_cmp_class_f32_e64 s2, v8, 0x204
	v_cmp_neq_f32_e64 s14, v9, v16
	s_delay_alu instid0(VALU_DEP_3) | instskip(NEXT) | instid1(VALU_DEP_3)
	v_cmp_eq_f32_e64 s3, 0x42b17218, v13
	v_cndmask_b32_e64 v18, v11, v8, s2
	v_cmp_neq_f32_e64 s4, 0x7f800000, |v13|
	v_cmp_eq_f32_e64 s2, 0, v5
	s_delay_alu instid0(VALU_DEP_4) | instskip(NEXT) | instid1(VALU_DEP_4)
	v_cndmask_b32_e64 v4, 0, 0x37000000, s3
	v_cmp_eq_f32_e64 s3, 0x42b17218, v18
	v_cmp_neq_f32_e64 s9, 0x7f800000, |v18|
	s_delay_alu instid0(VALU_DEP_3) | instskip(NEXT) | instid1(VALU_DEP_3)
	v_sub_f32_e32 v16, v13, v4
	v_cndmask_b32_e64 v9, 0, 0x37000000, s3
	s_delay_alu instid0(VALU_DEP_2) | instskip(NEXT) | instid1(VALU_DEP_2)
	v_cmp_ngt_f32_e64 s5, 0xc2ce8ed0, v16
	v_sub_f32_e32 v13, v18, v9
	v_cmp_nlt_f32_e64 s3, 0x42b17218, v16
	s_delay_alu instid0(VALU_DEP_2)
	v_cmp_ngt_f32_e64 s10, 0xc2ce8ed0, v13
	v_cmp_nlt_f32_e64 s8, 0x42b17218, v13
	s_cbranch_scc1 .LBB167_89
; %bb.1:
	v_dual_mul_f32 v14, 0x3fb8aa3b, v13 :: v_dual_mul_f32 v19, 0x3fb8aa3b, v16
	s_xor_b32 s12, s12, s2
	s_xor_b32 s11, s11, s7
	s_load_b256 s[24:31], s[0:1], 0x0
	s_delay_alu instid0(VALU_DEP_1)
	v_fma_f32 v15, 0x3fb8aa3b, v13, -v14
	v_rndne_f32_e32 v17, v14
	v_cndmask_b32_e64 v20, 0x7f800000, 0, s12
	s_and_b32 s12, s6, s13
	s_clause 0x1
	s_load_b128 s[36:39], s[0:1], 0x50
	s_load_b64 s[40:41], s[0:1], 0x60
	v_dual_fmac_f32 v15, 0x32a5705f, v13 :: v_dual_sub_f32 v18, v12, v10
	v_dual_sub_f32 v13, v14, v17 :: v_dual_sub_f32 v8, v11, v8
	v_cvt_i32_f32_e32 v11, v17
	v_cndmask_b32_e64 v17, 0x7f800000, 0, s11
	s_load_b32 s13, s[0:1], 0x6c
	s_delay_alu instid0(VALU_DEP_3) | instskip(SKIP_3) | instid1(VALU_DEP_4)
	v_dual_add_f32 v10, v13, v15 :: v_dual_sub_f32 v7, v7, v8
	v_cmp_eq_f32_e64 s11, 0x7f800000, v2
	v_cmp_eq_f32_e64 s1, 0x7f800000, v1
	v_cndmask_b32_e64 v15, 1.0, v3, s12
	v_exp_f32_e32 v10, v10
	v_cndmask_b32_e64 v1, 0, v7, s9
	v_cndmask_b32_e64 v23, 0, v3, s12
	v_mov_b32_e32 v14, 0x7c
	v_fma_f32 v24, 0x3fb8aa3b, v16, -v19
	v_rndne_f32_e32 v25, v19
	v_add_f32_e32 v1, v9, v1
	v_dual_sub_f32 v6, v6, v18 :: v_dual_and_b32 v9, 0xe0, v0
	s_delay_alu instid0(VALU_DEP_3) | instskip(NEXT) | instid1(TRANS32_DEP_1)
	v_dual_fmac_f32 v24, 0x32a5705f, v16 :: v_dual_sub_f32 v19, v19, v25
	v_ldexp_f32 v8, v10, v11
	v_bfi_b32 v23, 0x7fffffff, v17, v23
	s_or_b32 s1, s1, s7
	s_and_b32 s14, vcc_lo, s14
	v_lshrrev_b32_e32 v21, 3, v0
	v_cndmask_b32_e64 v2, 0, v8, s10
	v_mbcnt_lo_u32_b32 v8, -1, 0
	v_cndmask_b32_e64 v6, 0, v6, s4
	v_dual_mov_b32 v10, 0 :: v_dual_and_b32 v7, 1, v0
	s_delay_alu instid0(VALU_DEP_4)
	v_cndmask_b32_e64 v2, 0x7f800000, v2, s8
	v_and_b32_e32 v32, 28, v21
	v_cndmask_b32_e64 v22, 1.0, v5, s14
	v_or_b32_e32 v17, v8, v9
	s_movk_i32 s9, 0x810
	v_fma_f32 v1, v2, v1, v2
	v_cmp_class_f32_e64 s0, v2, 0x204
	v_sub_f32_e64 v11, 1.0, s17
	v_sub_f32_e64 v12, 1.0, s16
	v_sub_f32_e64 v13, 1.0, s18
	v_mad_u32_u24 v16, 0x404, v7, s9
	v_cndmask_b32_e64 v1, v1, v2, s0
	v_cndmask_b32_e64 v2, 0, v5, s14
	v_cmp_gt_u32_e64 s0, 32, v0
	s_waitcnt lgkmcnt(0)
	v_cmp_gt_f32_e64 s7, s40, 0
	v_bfi_b32 v1, 0x7fffffff, v1, v15
	v_mul_u32_u24_e32 v15, 0x404, v7
	s_delay_alu instid0(VALU_DEP_2) | instskip(SKIP_1) | instid1(VALU_DEP_1)
	v_cndmask_b32_e64 v18, 0x7fc00000, v1, s6
	v_cmp_gt_f32_e64 s6, 0, v3
	v_cndmask_b32_e64 v1, v1, v18, s6
	v_cmp_o_f32_e64 s6, v3, v3
	s_delay_alu instid0(VALU_DEP_2) | instskip(SKIP_3) | instid1(VALU_DEP_4)
	v_cndmask_b32_e64 v1, v1, v23, s1
	v_add_f32_e32 v18, v19, v24
	v_cvt_i32_f32_e32 v19, v25
	v_bfi_b32 v25, 0x7fffffff, v20, v2
	v_dual_sub_f32 v1, 1.0, v1 :: v_dual_lshlrev_b32 v24, 1, v8
	s_delay_alu instid0(VALU_DEP_4) | instskip(SKIP_1) | instid1(VALU_DEP_2)
	v_exp_f32_e32 v18, v18
	v_cmp_eq_u32_e64 s1, 0, v8
	v_cndmask_b32_e64 v3, 0x7fc00000, v1, s6
	v_and_b32_e32 v23, 7, v8
	ds_load_2addr_b32 v[1:2], v15 offset0:63 offset1:127
	v_mul_f32_e32 v20, 0x4f800000, v3
	v_ldexp_f32 v18, v18, v19
	v_cmp_gt_f32_e64 s4, 0xf800000, v3
	v_lshlrev_b32_e32 v33, 2, v23
	s_delay_alu instid0(VALU_DEP_3) | instskip(NEXT) | instid1(VALU_DEP_3)
	v_cndmask_b32_e64 v21, 0, v18, s5
	v_cndmask_b32_e64 v29, v3, v20, s4
	v_add_f32_e32 v3, v4, v6
	ds_load_b32 v18, v15 offset:764
	ds_load_b32 v19, v15 offset:2828
	v_lshl_add_u32 v20, v17, 1, 0x1020
	v_cndmask_b32_e64 v4, 0x7f800000, v21, s3
	v_cmp_ne_u32_e64 s3, 7, v23
	v_sqrt_f32_e32 v6, v29
	s_delay_alu instid0(VALU_DEP_2) | instskip(NEXT) | instid1(VALU_DEP_2)
	v_fma_f32 v3, v4, v3, v4
	v_add_co_ci_u32_e64 v28, s3, 0, v8, s3
	v_cmp_class_f32_e64 s3, v4, 0x204
	s_waitcnt_depctr 0xfff
	v_add_nc_u32_e32 v31, -1, v6
	v_cndmask_b32_e64 v3, v3, v4, s3
	v_cmp_gt_u32_e64 s3, 6, v23
	v_add_nc_u32_e32 v36, 1, v6
	v_add_nc_u32_e32 v27, 12, v15
	s_delay_alu instid0(VALU_DEP_4) | instskip(NEXT) | instid1(VALU_DEP_4)
	v_bfi_b32 v35, 0x7fffffff, v3, v22
	v_cndmask_b32_e64 v30, 0, 1, s3
	v_cmp_gt_u32_e64 s3, 4, v23
	v_fma_f32 v23, -v31, v6, v29
	v_lshlrev_b32_e32 v26, 1, v9
	ds_load_2addr_stride64_b32 v[3:4], v27 offset0:9 offset1:10
	v_cndmask_b32_e32 v27, 0x7fc00000, v35, vcc_lo
	v_fma_f32 v37, -v36, v6, v29
	v_cmp_ge_f32_e32 vcc_lo, 0, v23
	v_lshlrev_b32_e32 v23, 2, v28
	v_cndmask_b32_e64 v34, 0, 1, s3
	v_cmp_ne_u32_e64 s3, 0, v0
	v_cndmask_b32_e32 v6, v6, v31, vcc_lo
	v_cmp_gt_f32_e32 vcc_lo, 0, v5
	v_cndmask_b32_e32 v27, v35, v27, vcc_lo
	v_cmp_lt_f32_e32 vcc_lo, 0, v37
	v_or_b32_e32 v21, 0x1220, v32
	v_cndmask_b32_e32 v6, v6, v36, vcc_lo
	s_or_b32 vcc_lo, s11, s2
	v_cndmask_b32_e32 v27, v27, v25, vcc_lo
	s_delay_alu instid0(VALU_DEP_2) | instskip(NEXT) | instid1(VALU_DEP_1)
	v_mul_f32_e32 v31, 0x37800000, v6
	v_cndmask_b32_e64 v6, v6, v31, s4
	v_lshlrev_b32_e32 v28, 1, v30
	v_lshlrev_b32_e32 v30, 2, v34
	v_add_co_u32 v34, s2, s26, v24
	s_delay_alu instid0(VALU_DEP_1) | instskip(NEXT) | instid1(VALU_DEP_4)
	v_add_co_ci_u32_e64 v35, null, s27, 0, s2
	v_add_lshl_u32 v24, v28, v8, 2
	s_delay_alu instid0(VALU_DEP_3) | instskip(SKIP_1) | instid1(VALU_DEP_4)
	v_add_co_u32 v26, vcc_lo, v34, v26
	v_sub_f32_e32 v28, 1.0, v27
	v_add_co_ci_u32_e32 v27, vcc_lo, 0, v35, vcc_lo
	v_cmp_o_f32_e32 vcc_lo, v5, v5
	v_add_lshl_u32 v25, v30, v8, 2
	v_or_b32_e32 v30, 0x1240, v32
	v_or_b32_e32 v32, 0x1260, v32
	v_cmp_eq_u32_e64 s2, 0, v0
	v_cndmask_b32_e32 v28, 0x7fc00000, v28, vcc_lo
	v_cmp_class_f32_e64 vcc_lo, v29, 0x260
	v_or_b32_e32 v22, 0x1220, v33
	v_or_b32_e32 v31, 0x1240, v33
	;; [unrolled: 1-line block ×3, first 2 shown]
	v_fma_f32 v0, -s22, s40, 1.0
	v_dual_cndmask_b32 v29, v6, v29 :: v_dual_mov_b32 v34, 0xff
	s_lshl_b32 s4, s15, 8
	s_delay_alu instid0(SALU_CYCLE_1)
	s_sub_i32 s8, 0, s4
	s_branch .LBB167_3
.LBB167_2:                              ;   in Loop: Header=BB167_3 Depth=1
	s_or_b32 exec_lo, exec_lo, s5
	v_add_co_u32 v5, s4, s34, s21
	s_delay_alu instid0(VALU_DEP_1) | instskip(SKIP_1) | instid1(VALU_DEP_1)
	s_and_not1_b32 vcc_lo, exec_lo, s4
	s_sub_i32 s8, s8, s21
	v_readfirstlane_b32 s34, v5
	s_cbranch_vccnz .LBB167_89
.LBB167_3:                              ; =>This Inner Loop Header: Depth=1
	s_add_i32 s4, s13, s8
	v_mov_b32_e32 v5, 0
	s_min_u32 s4, s4, 0x100
	s_waitcnt lgkmcnt(0)
	v_cmp_gt_u32_e64 s4, s4, v17
	s_waitcnt_vscnt null, 0x0
	s_barrier
	buffer_gl0_inv
	s_and_saveexec_b32 s5, s4
	s_cbranch_execz .LBB167_5
; %bb.4:                                ;   in Loop: Header=BB167_3 Depth=1
	s_lshl_b64 s[10:11], s[34:35], 1
	s_delay_alu instid0(SALU_CYCLE_1)
	v_add_co_u32 v5, vcc_lo, v26, s10
	v_add_co_ci_u32_e32 v6, vcc_lo, s11, v27, vcc_lo
	global_load_u16 v5, v[5:6], off
.LBB167_5:                              ;   in Loop: Header=BB167_3 Depth=1
	s_or_b32 exec_lo, exec_lo, s5
	s_waitcnt vmcnt(0)
	ds_store_b16 v20, v5
	; wave barrier
	ds_load_u16 v6, v20
	v_mov_b32_e32 v5, 0x80
	s_add_u32 s9, s28, s34
	s_addc_u32 s10, s29, 0
	s_waitcnt lgkmcnt(0)
	s_barrier
	buffer_gl0_inv
	s_and_saveexec_b32 s5, s4
	s_cbranch_execz .LBB167_7
; %bb.6:                                ;   in Loop: Header=BB167_3 Depth=1
	v_add_co_u32 v5, s6, s9, v8
	s_delay_alu instid0(VALU_DEP_1) | instskip(NEXT) | instid1(VALU_DEP_2)
	v_add_co_ci_u32_e64 v36, null, s10, 0, s6
	v_add_co_u32 v35, vcc_lo, v5, v9
	s_delay_alu instid0(VALU_DEP_2)
	v_add_co_ci_u32_e32 v36, vcc_lo, 0, v36, vcc_lo
	global_load_u8 v5, v[35:36], off
.LBB167_7:                              ;   in Loop: Header=BB167_3 Depth=1
	s_or_b32 exec_lo, exec_lo, s5
	s_waitcnt vmcnt(0)
	ds_store_b8 v17, v5 offset:4128
	; wave barrier
	ds_load_u8 v5, v17 offset:4128
	v_mov_b32_e32 v35, 0
	s_add_u32 s11, s30, s34
	s_addc_u32 s12, s31, 0
	s_waitcnt lgkmcnt(0)
	s_barrier
	buffer_gl0_inv
	s_and_saveexec_b32 s5, s4
	s_cbranch_execz .LBB167_9
; %bb.8:                                ;   in Loop: Header=BB167_3 Depth=1
	v_add_co_u32 v35, s6, s11, v8
	s_delay_alu instid0(VALU_DEP_1) | instskip(NEXT) | instid1(VALU_DEP_2)
	v_add_co_ci_u32_e64 v36, null, s12, 0, s6
	v_add_co_u32 v35, vcc_lo, v35, v9
	s_delay_alu instid0(VALU_DEP_2)
	v_add_co_ci_u32_e32 v36, vcc_lo, 0, v36, vcc_lo
	global_load_u8 v35, v[35:36], off
.LBB167_9:                              ;   in Loop: Header=BB167_3 Depth=1
	s_or_b32 exec_lo, exec_lo, s5
	s_waitcnt vmcnt(0)
	ds_store_b8 v17, v35 offset:4128
	; wave barrier
	ds_load_u8 v37, v17 offset:4128
	s_add_i32 s6, s13, s34
	v_mov_b32_e32 v39, 0x80
	s_add_u32 s14, s28, s6
	s_addc_u32 s15, s29, 0
	s_waitcnt lgkmcnt(0)
	s_barrier
	buffer_gl0_inv
	s_and_saveexec_b32 s5, s4
	s_cbranch_execz .LBB167_11
; %bb.10:                               ;   in Loop: Header=BB167_3 Depth=1
	v_add_co_u32 v35, s23, s14, v8
	s_delay_alu instid0(VALU_DEP_1) | instskip(NEXT) | instid1(VALU_DEP_2)
	v_add_co_ci_u32_e64 v36, null, s15, 0, s23
	v_add_co_u32 v35, vcc_lo, v35, v9
	s_delay_alu instid0(VALU_DEP_2)
	v_add_co_ci_u32_e32 v36, vcc_lo, 0, v36, vcc_lo
	global_load_u8 v39, v[35:36], off
.LBB167_11:                             ;   in Loop: Header=BB167_3 Depth=1
	s_or_b32 exec_lo, exec_lo, s5
	v_dual_mov_b32 v35, 0 :: v_dual_lshlrev_b32 v6, 16, v6
	v_mov_b32_e32 v38, 0
	v_mov_b32_e32 v36, 0
	s_waitcnt vmcnt(0)
	ds_store_b8 v17, v39 offset:4128
	v_cmp_class_f32_e64 s5, v6, 0x1f8
	; wave barrier
	s_delay_alu instid0(VALU_DEP_1)
	s_and_saveexec_b32 s23, s5
	s_cbranch_execz .LBB167_13
; %bb.12:                               ;   in Loop: Header=BB167_3 Depth=1
	s_lshr_b32 s26, s6, 6
	s_lshr_b32 s27, s34, 6
	s_and_b32 s26, s26, 0x3fffffc
	s_delay_alu instid0(SALU_CYCLE_1)
	v_dual_mov_b32 v35, s27 :: v_dual_mov_b32 v36, s26
	v_dual_mul_f32 v6, s41, v6 :: v_dual_and_b32 v5, 0xff, v5
	s_clause 0x2
	global_load_b32 v38, v35, s[38:39]
	global_load_b32 v35, v35, s[36:37]
	global_load_b32 v36, v36, s[36:37]
	ds_load_u8 v39, v17 offset:4128
	v_lshlrev_b32_e32 v5, 2, v5
	v_and_b32_e32 v37, 0xff, v37
	s_delay_alu instid0(VALU_DEP_2) | instskip(NEXT) | instid1(VALU_DEP_2)
	v_mad_u32_u24 v5, 0x404, v7, v5
	v_lshlrev_b32_e32 v37, 2, v37
	ds_load_b32 v5, v5
	v_mad_u32_u24 v37, 0x404, v7, v37
	s_waitcnt lgkmcnt(1)
	v_lshlrev_b32_e32 v39, 2, v39
	s_delay_alu instid0(VALU_DEP_1)
	v_mad_u32_u24 v39, 0x404, v7, v39
	ds_load_b32 v37, v37 offset:2064
	ds_load_b32 v39, v39
	s_waitcnt vmcnt(1) lgkmcnt(2)
	v_mul_f32_e32 v5, v5, v35
	s_waitcnt lgkmcnt(1)
	v_mul_f32_e32 v37, v37, v38
	s_waitcnt vmcnt(0) lgkmcnt(0)
	v_mul_f32_e32 v35, v39, v36
	v_dual_mul_f32 v39, v11, v6 :: v_dual_mul_f32 v36, s16, v5
	s_delay_alu instid0(VALU_DEP_2) | instskip(NEXT) | instid1(VALU_DEP_2)
	v_dual_mul_f32 v38, s17, v37 :: v_dual_mul_f32 v35, s18, v35
	v_fmac_f32_e32 v36, v12, v6
	s_delay_alu instid0(VALU_DEP_2)
	v_dual_fmac_f32 v38, v6, v39 :: v_dual_fmac_f32 v35, v13, v6
.LBB167_13:                             ;   in Loop: Header=BB167_3 Depth=1
	s_or_b32 exec_lo, exec_lo, s23
	s_delay_alu instid0(VALU_DEP_2) | instskip(NEXT) | instid1(VALU_DEP_1)
	v_max_f32_e64 v5, |v36|, |v36|
	v_max_f32_e32 v5, 0xff7fffff, v5
	s_delay_alu instid0(VALU_DEP_1) | instskip(NEXT) | instid1(VALU_DEP_1)
	v_mov_b32_dpp v6, v5 quad_perm:[1,0,3,2] row_mask:0xf bank_mask:0xf
	v_cmp_gt_f32_e32 vcc_lo, v5, v6
	v_cndmask_b32_e32 v5, v6, v5, vcc_lo
	s_delay_alu instid0(VALU_DEP_1) | instskip(NEXT) | instid1(VALU_DEP_1)
	v_mov_b32_dpp v6, v5 quad_perm:[2,3,0,1] row_mask:0xf bank_mask:0xf
	v_cmp_gt_f32_e32 vcc_lo, v5, v6
	v_cndmask_b32_e32 v5, v6, v5, vcc_lo
	s_delay_alu instid0(VALU_DEP_1) | instskip(NEXT) | instid1(VALU_DEP_1)
	v_mov_b32_dpp v6, v5 row_ror:4 row_mask:0xf bank_mask:0xf
	v_cmp_gt_f32_e32 vcc_lo, v5, v6
	v_cndmask_b32_e32 v5, v6, v5, vcc_lo
	s_delay_alu instid0(VALU_DEP_1) | instskip(NEXT) | instid1(VALU_DEP_1)
	v_mov_b32_dpp v6, v5 row_ror:8 row_mask:0xf bank_mask:0xf
	v_cmp_gt_f32_e32 vcc_lo, v5, v6
	v_cndmask_b32_e32 v5, v6, v5, vcc_lo
	ds_swizzle_b32 v6, v5 offset:swizzle(BROADCAST,32,15)
	s_waitcnt lgkmcnt(0)
	v_cmp_gt_f32_e32 vcc_lo, v5, v6
	v_cndmask_b32_e32 v5, v6, v5, vcc_lo
	ds_bpermute_b32 v5, v14, v5
	s_and_saveexec_b32 s23, s1
	s_delay_alu instid0(SALU_CYCLE_1)
	s_xor_b32 s23, exec_lo, s23
	s_cbranch_execz .LBB167_15
; %bb.14:                               ;   in Loop: Header=BB167_3 Depth=1
	s_waitcnt lgkmcnt(0)
	ds_store_b32 v21, v5
.LBB167_15:                             ;   in Loop: Header=BB167_3 Depth=1
	s_or_b32 exec_lo, exec_lo, s23
	s_waitcnt lgkmcnt(0)
	s_barrier
	buffer_gl0_inv
	s_and_saveexec_b32 s23, s0
	s_cbranch_execz .LBB167_17
; %bb.16:                               ;   in Loop: Header=BB167_3 Depth=1
	ds_load_b32 v5, v22
	s_waitcnt lgkmcnt(0)
	ds_bpermute_b32 v6, v23, v5
	s_waitcnt lgkmcnt(0)
	v_cmp_lt_f32_e32 vcc_lo, v5, v6
	v_cndmask_b32_e32 v5, v5, v6, vcc_lo
	ds_bpermute_b32 v6, v24, v5
	s_waitcnt lgkmcnt(0)
	v_cmp_lt_f32_e32 vcc_lo, v5, v6
	v_cndmask_b32_e32 v5, v5, v6, vcc_lo
	;; [unrolled: 4-line block ×3, first 2 shown]
.LBB167_17:                             ;   in Loop: Header=BB167_3 Depth=1
	s_or_b32 exec_lo, exec_lo, s23
	v_max_f32_e64 v6, |v38|, |v38|
	s_delay_alu instid0(VALU_DEP_1) | instskip(NEXT) | instid1(VALU_DEP_1)
	v_max_f32_e32 v6, 0xff7fffff, v6
	v_mov_b32_dpp v37, v6 quad_perm:[1,0,3,2] row_mask:0xf bank_mask:0xf
	s_delay_alu instid0(VALU_DEP_1) | instskip(SKIP_1) | instid1(VALU_DEP_1)
	v_cmp_gt_f32_e32 vcc_lo, v6, v37
	v_cndmask_b32_e32 v6, v37, v6, vcc_lo
	v_mov_b32_dpp v37, v6 quad_perm:[2,3,0,1] row_mask:0xf bank_mask:0xf
	s_delay_alu instid0(VALU_DEP_1) | instskip(SKIP_1) | instid1(VALU_DEP_1)
	v_cmp_gt_f32_e32 vcc_lo, v6, v37
	v_cndmask_b32_e32 v6, v37, v6, vcc_lo
	v_mov_b32_dpp v37, v6 row_ror:4 row_mask:0xf bank_mask:0xf
	s_delay_alu instid0(VALU_DEP_1) | instskip(SKIP_1) | instid1(VALU_DEP_1)
	v_cmp_gt_f32_e32 vcc_lo, v6, v37
	v_cndmask_b32_e32 v6, v37, v6, vcc_lo
	v_mov_b32_dpp v37, v6 row_ror:8 row_mask:0xf bank_mask:0xf
	s_delay_alu instid0(VALU_DEP_1)
	v_cmp_gt_f32_e32 vcc_lo, v6, v37
	v_cndmask_b32_e32 v6, v37, v6, vcc_lo
	ds_swizzle_b32 v37, v6 offset:swizzle(BROADCAST,32,15)
	s_waitcnt lgkmcnt(0)
	v_cmp_gt_f32_e32 vcc_lo, v6, v37
	v_cndmask_b32_e32 v6, v37, v6, vcc_lo
	ds_bpermute_b32 v6, v14, v6
	s_and_saveexec_b32 s23, s1
	s_cbranch_execz .LBB167_19
; %bb.18:                               ;   in Loop: Header=BB167_3 Depth=1
	s_waitcnt lgkmcnt(0)
	ds_store_b32 v30, v6
.LBB167_19:                             ;   in Loop: Header=BB167_3 Depth=1
	s_or_b32 exec_lo, exec_lo, s23
	s_waitcnt lgkmcnt(0)
	s_barrier
	buffer_gl0_inv
	s_and_saveexec_b32 s23, s0
	s_cbranch_execz .LBB167_21
; %bb.20:                               ;   in Loop: Header=BB167_3 Depth=1
	ds_load_b32 v6, v31
	s_waitcnt lgkmcnt(0)
	ds_bpermute_b32 v37, v23, v6
	s_waitcnt lgkmcnt(0)
	v_cmp_lt_f32_e32 vcc_lo, v6, v37
	v_cndmask_b32_e32 v6, v6, v37, vcc_lo
	ds_bpermute_b32 v37, v24, v6
	s_waitcnt lgkmcnt(0)
	v_cmp_lt_f32_e32 vcc_lo, v6, v37
	v_cndmask_b32_e32 v6, v6, v37, vcc_lo
	;; [unrolled: 4-line block ×3, first 2 shown]
.LBB167_21:                             ;   in Loop: Header=BB167_3 Depth=1
	s_or_b32 exec_lo, exec_lo, s23
	v_max_f32_e64 v37, |v35|, |v35|
	s_delay_alu instid0(VALU_DEP_1) | instskip(NEXT) | instid1(VALU_DEP_1)
	v_max_f32_e32 v37, 0xff7fffff, v37
	v_mov_b32_dpp v39, v37 quad_perm:[1,0,3,2] row_mask:0xf bank_mask:0xf
	s_delay_alu instid0(VALU_DEP_1) | instskip(SKIP_1) | instid1(VALU_DEP_1)
	v_cmp_gt_f32_e32 vcc_lo, v37, v39
	v_cndmask_b32_e32 v37, v39, v37, vcc_lo
	v_mov_b32_dpp v39, v37 quad_perm:[2,3,0,1] row_mask:0xf bank_mask:0xf
	s_delay_alu instid0(VALU_DEP_1) | instskip(SKIP_1) | instid1(VALU_DEP_1)
	v_cmp_gt_f32_e32 vcc_lo, v37, v39
	v_cndmask_b32_e32 v37, v39, v37, vcc_lo
	v_mov_b32_dpp v39, v37 row_ror:4 row_mask:0xf bank_mask:0xf
	s_delay_alu instid0(VALU_DEP_1) | instskip(SKIP_1) | instid1(VALU_DEP_1)
	v_cmp_gt_f32_e32 vcc_lo, v37, v39
	v_cndmask_b32_e32 v37, v39, v37, vcc_lo
	v_mov_b32_dpp v39, v37 row_ror:8 row_mask:0xf bank_mask:0xf
	s_delay_alu instid0(VALU_DEP_1)
	v_cmp_gt_f32_e32 vcc_lo, v37, v39
	v_cndmask_b32_e32 v37, v39, v37, vcc_lo
	ds_swizzle_b32 v39, v37 offset:swizzle(BROADCAST,32,15)
	s_waitcnt lgkmcnt(0)
	v_cmp_gt_f32_e32 vcc_lo, v37, v39
	v_cndmask_b32_e32 v37, v39, v37, vcc_lo
	ds_bpermute_b32 v37, v14, v37
	s_and_saveexec_b32 s23, s1
	s_cbranch_execz .LBB167_23
; %bb.22:                               ;   in Loop: Header=BB167_3 Depth=1
	s_waitcnt lgkmcnt(0)
	ds_store_b32 v32, v37
.LBB167_23:                             ;   in Loop: Header=BB167_3 Depth=1
	s_or_b32 exec_lo, exec_lo, s23
	s_waitcnt lgkmcnt(0)
	s_barrier
	buffer_gl0_inv
	s_and_saveexec_b32 s23, s0
	s_cbranch_execz .LBB167_25
; %bb.24:                               ;   in Loop: Header=BB167_3 Depth=1
	ds_load_b32 v37, v33
	s_waitcnt lgkmcnt(0)
	ds_bpermute_b32 v39, v23, v37
	s_waitcnt lgkmcnt(0)
	v_cmp_lt_f32_e32 vcc_lo, v37, v39
	v_cndmask_b32_e32 v37, v37, v39, vcc_lo
	ds_bpermute_b32 v39, v24, v37
	s_waitcnt lgkmcnt(0)
	v_cmp_lt_f32_e32 vcc_lo, v37, v39
	v_cndmask_b32_e32 v37, v37, v39, vcc_lo
	;; [unrolled: 4-line block ×3, first 2 shown]
.LBB167_25:                             ;   in Loop: Header=BB167_3 Depth=1
	s_or_b32 exec_lo, exec_lo, s23
	s_and_saveexec_b32 s23, s2
	s_cbranch_execz .LBB167_27
; %bb.26:                               ;   in Loop: Header=BB167_3 Depth=1
	ds_store_b64 v10, v[5:6] offset:2056
	ds_store_b32 v10, v37 offset:4120
.LBB167_27:                             ;   in Loop: Header=BB167_3 Depth=1
	s_or_b32 exec_lo, exec_lo, s23
	s_waitcnt lgkmcnt(0)
	s_barrier
	buffer_gl0_inv
	s_and_saveexec_b32 s23, s3
	s_delay_alu instid0(SALU_CYCLE_1)
	s_xor_b32 s23, exec_lo, s23
	s_cbranch_execz .LBB167_29
; %bb.28:                               ;   in Loop: Header=BB167_3 Depth=1
	ds_load_b64 v[5:6], v10 offset:2056
	ds_load_b32 v37, v10 offset:4120
.LBB167_29:                             ;   in Loop: Header=BB167_3 Depth=1
	s_and_not1_saveexec_b32 s23, s23
	s_cbranch_execz .LBB167_31
; %bb.30:                               ;   in Loop: Header=BB167_3 Depth=1
	s_lshr_b32 s26, s34, 6
	s_lshr_b32 s6, s6, 6
	s_delay_alu instid0(SALU_CYCLE_1) | instskip(NEXT) | instid1(SALU_CYCLE_1)
	s_and_b32 s6, s6, 0x3fffffc
	v_dual_mov_b32 v39, s26 :: v_dual_mov_b32 v40, s6
	s_waitcnt lgkmcnt(1)
	s_clause 0x1
	global_store_b32 v39, v5, s[36:37]
	global_store_b32 v39, v6, s[38:39]
	s_waitcnt lgkmcnt(0)
	global_store_b32 v40, v37, s[36:37]
.LBB167_31:                             ;   in Loop: Header=BB167_3 Depth=1
	s_or_b32 exec_lo, exec_lo, s23
	s_lshl_b64 s[26:27], s[34:35], 1
	v_dual_mov_b32 v41, 0 :: v_dual_lshlrev_b32 v40, 1, v8
	v_lshlrev_b32_e32 v39, 1, v9
	s_add_u32 s6, s24, s26
	s_addc_u32 s23, s25, s27
	s_waitcnt lgkmcnt(0)
	s_waitcnt_vscnt null, 0x0
	s_barrier
	buffer_gl0_inv
	s_and_saveexec_b32 s26, s4
	s_cbranch_execz .LBB167_33
; %bb.32:                               ;   in Loop: Header=BB167_3 Depth=1
	v_add_co_u32 v41, s27, s6, v40
	s_delay_alu instid0(VALU_DEP_1) | instskip(NEXT) | instid1(VALU_DEP_2)
	v_add_co_ci_u32_e64 v42, null, s23, 0, s27
	v_add_co_u32 v41, vcc_lo, v41, v39
	s_delay_alu instid0(VALU_DEP_2)
	v_add_co_ci_u32_e32 v42, vcc_lo, 0, v42, vcc_lo
	global_load_u16 v41, v[41:42], off
.LBB167_33:                             ;   in Loop: Header=BB167_3 Depth=1
	s_or_b32 exec_lo, exec_lo, s26
	s_waitcnt vmcnt(0)
	ds_store_b16 v20, v41
	; wave barrier
	ds_load_u16 v41, v20
	s_and_saveexec_b32 s26, s5
	s_cbranch_execz .LBB167_45
; %bb.34:                               ;   in Loop: Header=BB167_3 Depth=1
	v_mul_f32_e32 v42, 0x4f800000, v38
	v_cmp_gt_f32_e32 vcc_lo, 0xf800000, v38
	s_waitcnt lgkmcnt(0)
	s_delay_alu instid0(VALU_DEP_2) | instskip(NEXT) | instid1(VALU_DEP_1)
	v_dual_cndmask_b32 v42, v38, v42 :: v_dual_lshlrev_b32 v41, 16, v41
	v_sqrt_f32_e32 v43, v42
	s_waitcnt_depctr 0xfff
	v_add_nc_u32_e32 v44, -1, v43
	v_add_nc_u32_e32 v45, 1, v43
	s_delay_alu instid0(VALU_DEP_2) | instskip(NEXT) | instid1(VALU_DEP_2)
	v_fma_f32 v46, -v44, v43, v42
	v_fma_f32 v47, -v45, v43, v42
	s_delay_alu instid0(VALU_DEP_2) | instskip(NEXT) | instid1(VALU_DEP_1)
	v_cmp_ge_f32_e64 s5, 0, v46
	v_cndmask_b32_e64 v43, v43, v44, s5
	s_delay_alu instid0(VALU_DEP_3) | instskip(NEXT) | instid1(VALU_DEP_1)
	v_cmp_lt_f32_e64 s5, 0, v47
	v_cndmask_b32_e64 v43, v43, v45, s5
	s_delay_alu instid0(VALU_DEP_1) | instskip(NEXT) | instid1(VALU_DEP_1)
	v_mul_f32_e32 v44, 0x37800000, v43
	v_cndmask_b32_e32 v43, v43, v44, vcc_lo
	v_cmp_class_f32_e64 vcc_lo, v42, 0x260
	s_delay_alu instid0(VALU_DEP_2) | instskip(SKIP_2) | instid1(VALU_DEP_3)
	v_cndmask_b32_e32 v42, v43, v42, vcc_lo
	v_div_scale_f32 v43, null, v28, v28, v36
	v_div_scale_f32 v49, vcc_lo, v36, v28, v36
	v_div_scale_f32 v44, null, v29, v29, v42
	s_delay_alu instid0(VALU_DEP_3) | instskip(NEXT) | instid1(VALU_DEP_1)
	v_rcp_f32_e32 v45, v43
	v_rcp_f32_e32 v46, v44
	s_waitcnt_depctr 0xfff
	v_fma_f32 v47, -v43, v45, 1.0
	v_fma_f32 v48, -v44, v46, 1.0
	s_delay_alu instid0(VALU_DEP_1) | instskip(NEXT) | instid1(VALU_DEP_1)
	v_dual_fmac_f32 v45, v47, v45 :: v_dual_fmac_f32 v46, v48, v46
	v_mul_f32_e32 v48, v49, v45
	s_delay_alu instid0(VALU_DEP_1) | instskip(NEXT) | instid1(VALU_DEP_1)
	v_fma_f32 v51, -v43, v48, v49
	v_fmac_f32_e32 v48, v51, v45
	s_delay_alu instid0(VALU_DEP_1) | instskip(NEXT) | instid1(VALU_DEP_1)
	v_fma_f32 v43, -v43, v48, v49
	v_div_fmas_f32 v43, v43, v45, v48
	s_delay_alu instid0(VALU_DEP_1) | instskip(NEXT) | instid1(VALU_DEP_1)
	v_div_fixup_f32 v43, v43, v28, v36
	v_fmac_f32_e32 v43, s19, v35
	v_div_scale_f32 v47, s5, v42, v29, v42
	s_delay_alu instid0(VALU_DEP_1) | instskip(NEXT) | instid1(VALU_DEP_1)
	s_mov_b32 vcc_lo, s5
	v_mul_f32_e32 v50, v47, v46
	s_delay_alu instid0(VALU_DEP_1) | instskip(NEXT) | instid1(VALU_DEP_1)
	v_fma_f32 v52, -v44, v50, v47
	v_fmac_f32_e32 v50, v52, v46
	s_delay_alu instid0(VALU_DEP_1) | instskip(NEXT) | instid1(VALU_DEP_1)
	v_fma_f32 v44, -v44, v50, v47
	v_div_fmas_f32 v44, v44, v46, v50
	s_delay_alu instid0(VALU_DEP_1) | instskip(NEXT) | instid1(VALU_DEP_1)
	v_div_fixup_f32 v42, v44, v29, v42
	v_add_f32_e32 v42, s20, v42
	s_delay_alu instid0(VALU_DEP_1) | instskip(NEXT) | instid1(VALU_DEP_1)
	v_div_scale_f32 v44, null, v42, v42, v43
	v_rcp_f32_e32 v45, v44
	s_waitcnt_depctr 0xfff
	v_fma_f32 v46, -v44, v45, 1.0
	s_delay_alu instid0(VALU_DEP_1) | instskip(SKIP_1) | instid1(VALU_DEP_1)
	v_fmac_f32_e32 v45, v46, v45
	v_div_scale_f32 v46, vcc_lo, v43, v42, v43
	v_mul_f32_e32 v47, v46, v45
	s_delay_alu instid0(VALU_DEP_1) | instskip(NEXT) | instid1(VALU_DEP_1)
	v_fma_f32 v48, -v44, v47, v46
	v_fmac_f32_e32 v47, v48, v45
	s_delay_alu instid0(VALU_DEP_1) | instskip(NEXT) | instid1(VALU_DEP_1)
	v_fma_f32 v44, -v44, v47, v46
	v_div_fmas_f32 v44, v44, v45, v47
	s_delay_alu instid0(VALU_DEP_1) | instskip(NEXT) | instid1(VALU_DEP_1)
	v_div_fixup_f32 v42, v44, v42, v43
	v_fma_f32 v42, -v42, s22, v41
	s_delay_alu instid0(VALU_DEP_1) | instskip(NEXT) | instid1(VALU_DEP_1)
	v_and_b32_e32 v41, 0x7f800000, v42
	v_cmp_ne_u32_e32 vcc_lo, 0x7f800000, v41
                                        ; implicit-def: $vgpr41
	s_and_saveexec_b32 s5, vcc_lo
	s_delay_alu instid0(SALU_CYCLE_1)
	s_xor_b32 s5, exec_lo, s5
	s_cbranch_execnz .LBB167_42
; %bb.35:                               ;   in Loop: Header=BB167_3 Depth=1
	s_and_not1_saveexec_b32 s5, s5
	s_cbranch_execnz .LBB167_43
.LBB167_36:                             ;   in Loop: Header=BB167_3 Depth=1
	s_or_b32 exec_lo, exec_lo, s5
	s_delay_alu instid0(SALU_CYCLE_1)
	s_and_not1_b32 vcc_lo, exec_lo, s7
	s_cbranch_vccnz .LBB167_44
.LBB167_37:                             ;   in Loop: Header=BB167_3 Depth=1
	s_delay_alu instid0(VALU_DEP_1) | instskip(NEXT) | instid1(VALU_DEP_1)
	v_and_b32_e32 v41, 0xffff0000, v41
	v_mul_f32_e32 v41, v0, v41
	s_delay_alu instid0(VALU_DEP_1) | instskip(NEXT) | instid1(VALU_DEP_1)
	v_and_b32_e32 v42, 0x7f800000, v41
	v_cmp_ne_u32_e32 vcc_lo, 0x7f800000, v42
                                        ; implicit-def: $vgpr42
	s_and_saveexec_b32 s5, vcc_lo
	s_delay_alu instid0(SALU_CYCLE_1)
	s_xor_b32 s5, exec_lo, s5
; %bb.38:                               ;   in Loop: Header=BB167_3 Depth=1
	v_bfe_u32 v42, v41, 16, 1
	s_delay_alu instid0(VALU_DEP_1)
	v_add3_u32 v42, v41, v42, 0x7fff
                                        ; implicit-def: $vgpr41
; %bb.39:                               ;   in Loop: Header=BB167_3 Depth=1
	s_and_not1_saveexec_b32 s5, s5
; %bb.40:                               ;   in Loop: Header=BB167_3 Depth=1
	v_and_b32_e32 v42, 0xffff, v41
	v_or_b32_e32 v43, 0x10000, v41
	s_delay_alu instid0(VALU_DEP_2) | instskip(NEXT) | instid1(VALU_DEP_2)
	v_cmp_eq_u32_e32 vcc_lo, 0, v42
	v_cndmask_b32_e32 v42, v43, v41, vcc_lo
; %bb.41:                               ;   in Loop: Header=BB167_3 Depth=1
	s_or_b32 exec_lo, exec_lo, s5
	s_delay_alu instid0(VALU_DEP_1)
	v_lshrrev_b32_e32 v41, 16, v42
	s_branch .LBB167_45
.LBB167_42:                             ;   in Loop: Header=BB167_3 Depth=1
	v_bfe_u32 v41, v42, 16, 1
	s_delay_alu instid0(VALU_DEP_1)
	v_add3_u32 v41, v42, v41, 0x7fff
                                        ; implicit-def: $vgpr42
	s_and_not1_saveexec_b32 s5, s5
	s_cbranch_execz .LBB167_36
.LBB167_43:                             ;   in Loop: Header=BB167_3 Depth=1
	v_and_b32_e32 v41, 0xffff, v42
	v_or_b32_e32 v43, 0x10000, v42
	s_delay_alu instid0(VALU_DEP_2) | instskip(NEXT) | instid1(VALU_DEP_2)
	v_cmp_eq_u32_e32 vcc_lo, 0, v41
	v_cndmask_b32_e32 v41, v43, v42, vcc_lo
	s_or_b32 exec_lo, exec_lo, s5
	s_delay_alu instid0(SALU_CYCLE_1)
	s_and_not1_b32 vcc_lo, exec_lo, s7
	s_cbranch_vccz .LBB167_37
.LBB167_44:                             ;   in Loop: Header=BB167_3 Depth=1
	s_delay_alu instid0(VALU_DEP_1)
	v_lshrrev_b32_e32 v41, 16, v41
.LBB167_45:                             ;   in Loop: Header=BB167_3 Depth=1
	s_or_b32 exec_lo, exec_lo, s26
	s_waitcnt lgkmcnt(0)
	s_barrier
	buffer_gl0_inv
	ds_store_b16 v20, v41
	; wave barrier
	s_and_saveexec_b32 s5, s4
	s_cbranch_execz .LBB167_47
; %bb.46:                               ;   in Loop: Header=BB167_3 Depth=1
	ds_load_u16 v41, v20
	v_add_co_u32 v40, s6, s6, v40
	s_delay_alu instid0(VALU_DEP_1) | instskip(NEXT) | instid1(VALU_DEP_2)
	v_add_co_ci_u32_e64 v42, null, s23, 0, s6
	v_add_co_u32 v39, vcc_lo, v40, v39
	s_delay_alu instid0(VALU_DEP_2)
	v_add_co_ci_u32_e32 v40, vcc_lo, 0, v42, vcc_lo
	s_waitcnt lgkmcnt(0)
	global_store_b16 v[39:40], v41, off
.LBB167_47:                             ;   in Loop: Header=BB167_3 Depth=1
	s_or_b32 exec_lo, exec_lo, s5
	v_div_scale_f32 v39, null, v5, v5, v36
	v_div_scale_f32 v42, vcc_lo, v36, v5, v36
	v_mov_b32_e32 v45, -16
	s_delay_alu instid0(VALU_DEP_3) | instskip(SKIP_3) | instid1(VALU_DEP_1)
	v_rcp_f32_e32 v40, v39
	s_mov_b32 s23, exec_lo
	s_waitcnt_depctr 0xfff
	v_fma_f32 v41, -v39, v40, 1.0
	v_fmac_f32_e32 v40, v41, v40
	s_delay_alu instid0(VALU_DEP_1) | instskip(NEXT) | instid1(VALU_DEP_1)
	v_mul_f32_e32 v41, v42, v40
	v_fma_f32 v43, -v39, v41, v42
	s_delay_alu instid0(VALU_DEP_1) | instskip(NEXT) | instid1(VALU_DEP_1)
	v_fmac_f32_e32 v41, v43, v40
	v_fma_f32 v39, -v39, v41, v42
	s_delay_alu instid0(VALU_DEP_1) | instskip(NEXT) | instid1(VALU_DEP_1)
	v_div_fmas_f32 v39, v39, v40, v41
	v_div_fixup_f32 v39, v39, v5, v36
	s_delay_alu instid0(VALU_DEP_1) | instskip(SKIP_3) | instid1(VALU_DEP_3)
	v_cmp_lt_f32_e32 vcc_lo, v2, v39
	v_cndmask_b32_e64 v5, 0, 1, vcc_lo
	v_cndmask_b32_e64 v43, 63, 0xbf, vcc_lo
	v_cndmask_b32_e32 v47, -1.0, v2, vcc_lo
	v_lshlrev_b32_e32 v5, 1, v5
	s_delay_alu instid0(VALU_DEP_1) | instskip(NEXT) | instid1(VALU_DEP_1)
	v_cmp_eq_u32_e64 s5, 1, v5
	v_cndmask_b32_e64 v40, v1, v2, s5
	v_cmp_eq_u32_e64 s5, 2, v5
	s_delay_alu instid0(VALU_DEP_1) | instskip(SKIP_1) | instid1(VALU_DEP_2)
	v_cndmask_b32_e64 v44, v40, v18, s5
	v_cndmask_b32_e64 v40, 0, 0x7f, vcc_lo
	v_cmp_lt_f32_e64 s5, v44, v39
	s_delay_alu instid0(VALU_DEP_1) | instskip(NEXT) | instid1(VALU_DEP_3)
	v_cndmask_b32_e64 v5, 0xffffffe0, 32, s5
	v_cndmask_b32_e64 v46, v40, v43, s5
	;; [unrolled: 1-line block ×3, first 2 shown]
	s_delay_alu instid0(VALU_DEP_3) | instskip(NEXT) | instid1(VALU_DEP_1)
	v_add_nc_u32_e32 v42, v5, v43
	v_mov_b32_e32 v40, v42
	v_lshl_add_u32 v41, v42, 2, v15
	ds_load_b32 v5, v41
	s_waitcnt lgkmcnt(0)
	v_cmpx_lt_f32_e32 v5, v39
; %bb.48:                               ;   in Loop: Header=BB167_3 Depth=1
	v_cndmask_b32_e64 v40, v2, 1.0, vcc_lo
	v_dual_cndmask_b32 v45, 0x7f, v34 :: v_dual_mov_b32 v46, v42
	v_mov_b32_e32 v47, v5
	s_delay_alu instid0(VALU_DEP_3) | instskip(NEXT) | instid1(VALU_DEP_3)
	v_cndmask_b32_e64 v44, v44, v40, s5
	v_cndmask_b32_e64 v40, v43, v45, s5
	v_mov_b32_e32 v45, 16
	s_delay_alu instid0(VALU_DEP_3)
	v_mov_b32_e32 v5, v44
; %bb.49:                               ;   in Loop: Header=BB167_3 Depth=1
	s_or_b32 exec_lo, exec_lo, s23
	s_delay_alu instid0(VALU_DEP_2)
	v_lshl_add_u32 v41, v45, 2, v41
	v_dual_mov_b32 v45, -4 :: v_dual_add_nc_u32 v50, v45, v42
	s_mov_b32 s6, exec_lo
	ds_load_b32 v49, v41
	s_waitcnt lgkmcnt(0)
	v_cmp_lt_f32_e32 vcc_lo, v49, v39
	v_cndmask_b32_e64 v43, -8, 8, vcc_lo
	v_cndmask_b32_e32 v46, v46, v50, vcc_lo
	s_delay_alu instid0(VALU_DEP_2)
	v_lshl_add_u32 v44, v43, 2, v41
	v_add_nc_u32_e32 v42, v43, v50
	v_cndmask_b32_e32 v48, v47, v49, vcc_lo
	ds_load_b32 v41, v44
	v_mov_b32_e32 v43, v42
	s_waitcnt lgkmcnt(0)
	v_cmpx_lt_f32_e32 v41, v39
; %bb.50:                               ;   in Loop: Header=BB167_3 Depth=1
	v_dual_cndmask_b32 v5, v49, v5 :: v_dual_mov_b32 v46, v42
	v_dual_cndmask_b32 v43, v50, v40 :: v_dual_mov_b32 v48, v41
	v_mov_b32_e32 v45, 4
	s_delay_alu instid0(VALU_DEP_3)
	v_mov_b32_e32 v41, v5
; %bb.51:                               ;   in Loop: Header=BB167_3 Depth=1
	s_or_b32 exec_lo, exec_lo, s6
	s_delay_alu instid0(VALU_DEP_2)
	v_lshl_add_u32 v5, v45, 2, v44
	v_add_nc_u32_e32 v51, v45, v42
	s_mov_b32 s6, exec_lo
	ds_load_b32 v50, v5
	s_waitcnt lgkmcnt(0)
	v_cmp_lt_f32_e32 vcc_lo, v50, v39
	v_cndmask_b32_e64 v44, -2, 2, vcc_lo
	v_cndmask_b32_e32 v45, v48, v50, vcc_lo
	s_delay_alu instid0(VALU_DEP_2)
	v_lshl_add_u32 v5, v44, 2, v5
	v_add_nc_u32_e32 v47, v44, v51
	ds_load_b32 v40, v5
	v_dual_mov_b32 v42, v47 :: v_dual_mov_b32 v49, -1
	v_cndmask_b32_e32 v44, v46, v51, vcc_lo
	s_waitcnt lgkmcnt(0)
	v_cmpx_lt_f32_e32 v40, v39
; %bb.52:                               ;   in Loop: Header=BB167_3 Depth=1
	v_dual_cndmask_b32 v41, v50, v41 :: v_dual_cndmask_b32 v42, v51, v43
	v_dual_mov_b32 v49, 1 :: v_dual_mov_b32 v44, v47
	s_delay_alu instid0(VALU_DEP_2)
	v_dual_mov_b32 v45, v40 :: v_dual_mov_b32 v40, v41
; %bb.53:                               ;   in Loop: Header=BB167_3 Depth=1
	s_or_b32 exec_lo, exec_lo, s6
	s_delay_alu instid0(VALU_DEP_2)
	v_lshl_add_u32 v5, v49, 2, v5
	v_add_nc_u32_e32 v41, v49, v47
	s_mov_b32 s5, exec_lo
	ds_load_b32 v43, v5
                                        ; implicit-def: $vgpr5
	s_waitcnt lgkmcnt(0)
	v_cmpx_nlt_f32_e32 v43, v39
	s_xor_b32 s5, exec_lo, s5
; %bb.54:                               ;   in Loop: Header=BB167_3 Depth=1
	v_add_f32_e32 v5, v45, v43
                                        ; implicit-def: $vgpr40
                                        ; implicit-def: $vgpr43
                                        ; implicit-def: $vgpr42
	s_delay_alu instid0(VALU_DEP_1) | instskip(NEXT) | instid1(VALU_DEP_1)
	v_mul_f32_e32 v5, 0.5, v5
	v_cmp_gt_f32_e32 vcc_lo, v5, v39
                                        ; implicit-def: $vgpr39
	v_cndmask_b32_e32 v5, v41, v44, vcc_lo
                                        ; implicit-def: $vgpr41
; %bb.55:                               ;   in Loop: Header=BB167_3 Depth=1
	s_and_not1_saveexec_b32 s5, s5
; %bb.56:                               ;   in Loop: Header=BB167_3 Depth=1
	v_add_f32_e32 v5, v40, v43
	s_delay_alu instid0(VALU_DEP_1) | instskip(NEXT) | instid1(VALU_DEP_1)
	v_mul_f32_e32 v5, 0.5, v5
	v_cmp_lt_f32_e32 vcc_lo, v5, v39
	v_cndmask_b32_e32 v5, v41, v42, vcc_lo
; %bb.57:                               ;   in Loop: Header=BB167_3 Depth=1
	s_or_b32 exec_lo, exec_lo, s5
	v_div_scale_f32 v39, null, v6, v6, v38
	v_div_scale_f32 v42, vcc_lo, v38, v6, v38
	s_mov_b32 s23, exec_lo
	s_delay_alu instid0(VALU_DEP_2) | instskip(SKIP_3) | instid1(VALU_DEP_1)
	v_rcp_f32_e32 v40, v39
	v_mov_b32_e32 v44, -16
	s_waitcnt_depctr 0xfff
	v_fma_f32 v41, -v39, v40, 1.0
	v_fmac_f32_e32 v40, v41, v40
	s_delay_alu instid0(VALU_DEP_1) | instskip(NEXT) | instid1(VALU_DEP_1)
	v_mul_f32_e32 v41, v42, v40
	v_fma_f32 v43, -v39, v41, v42
	s_delay_alu instid0(VALU_DEP_1) | instskip(NEXT) | instid1(VALU_DEP_1)
	v_fmac_f32_e32 v41, v43, v40
	v_fma_f32 v39, -v39, v41, v42
	s_delay_alu instid0(VALU_DEP_1) | instskip(NEXT) | instid1(VALU_DEP_1)
	v_div_fmas_f32 v39, v39, v40, v41
	v_div_fixup_f32 v38, v39, v6, v38
	s_delay_alu instid0(VALU_DEP_1) | instskip(SKIP_2) | instid1(VALU_DEP_2)
	v_cmp_lt_f32_e32 vcc_lo, v4, v38
	v_cndmask_b32_e64 v6, 0, 1, vcc_lo
	v_cndmask_b32_e64 v42, 63, 0xbf, vcc_lo
	v_lshlrev_b32_e32 v6, 1, v6
	s_delay_alu instid0(VALU_DEP_1) | instskip(NEXT) | instid1(VALU_DEP_1)
	v_cmp_eq_u32_e64 s5, 1, v6
	v_cndmask_b32_e64 v39, v3, v4, s5
	v_cmp_eq_u32_e64 s5, 2, v6
	s_delay_alu instid0(VALU_DEP_1) | instskip(SKIP_1) | instid1(VALU_DEP_2)
	v_cndmask_b32_e64 v43, v39, v19, s5
	v_cndmask_b32_e64 v39, 0, 0x7f, vcc_lo
	v_cmp_lt_f32_e64 s5, v43, v38
	s_delay_alu instid0(VALU_DEP_1) | instskip(NEXT) | instid1(VALU_DEP_3)
	v_cndmask_b32_e64 v6, 0xffffffe0, 32, s5
	v_cndmask_b32_e64 v45, v39, v42, s5
	s_delay_alu instid0(VALU_DEP_2) | instskip(NEXT) | instid1(VALU_DEP_1)
	v_dual_cndmask_b32 v46, 0, v4 :: v_dual_add_nc_u32 v41, v6, v42
	v_mov_b32_e32 v39, v41
	v_lshl_add_u32 v40, v41, 2, v16
	s_delay_alu instid0(VALU_DEP_3)
	v_cndmask_b32_e64 v46, v46, v43, s5
	ds_load_b32 v6, v40
	s_waitcnt lgkmcnt(0)
	v_cmpx_lt_f32_e32 v6, v38
; %bb.58:                               ;   in Loop: Header=BB167_3 Depth=1
	v_cndmask_b32_e64 v39, v4, 1.0, vcc_lo
	v_dual_cndmask_b32 v44, 0x7f, v34 :: v_dual_mov_b32 v45, v41
	v_mov_b32_e32 v46, v6
	s_delay_alu instid0(VALU_DEP_3) | instskip(NEXT) | instid1(VALU_DEP_3)
	v_cndmask_b32_e64 v43, v43, v39, s5
	v_cndmask_b32_e64 v39, v42, v44, s5
	v_mov_b32_e32 v44, 16
	s_delay_alu instid0(VALU_DEP_3)
	v_mov_b32_e32 v6, v43
; %bb.59:                               ;   in Loop: Header=BB167_3 Depth=1
	s_or_b32 exec_lo, exec_lo, s23
	s_delay_alu instid0(VALU_DEP_2)
	v_lshl_add_u32 v40, v44, 2, v40
	v_dual_mov_b32 v44, -4 :: v_dual_add_nc_u32 v49, v44, v41
	s_mov_b32 s6, exec_lo
	ds_load_b32 v48, v40
	s_waitcnt lgkmcnt(0)
	v_cmp_lt_f32_e32 vcc_lo, v48, v38
	v_cndmask_b32_e64 v42, -8, 8, vcc_lo
	v_cndmask_b32_e32 v45, v45, v49, vcc_lo
	s_delay_alu instid0(VALU_DEP_2)
	v_lshl_add_u32 v43, v42, 2, v40
	v_add_nc_u32_e32 v41, v42, v49
	v_cndmask_b32_e32 v47, v46, v48, vcc_lo
	ds_load_b32 v40, v43
	v_mov_b32_e32 v42, v41
	s_waitcnt lgkmcnt(0)
	v_cmpx_lt_f32_e32 v40, v38
; %bb.60:                               ;   in Loop: Header=BB167_3 Depth=1
	v_dual_cndmask_b32 v6, v48, v6 :: v_dual_mov_b32 v45, v41
	v_dual_cndmask_b32 v42, v49, v39 :: v_dual_mov_b32 v47, v40
	v_mov_b32_e32 v44, 4
	s_delay_alu instid0(VALU_DEP_3)
	v_mov_b32_e32 v40, v6
; %bb.61:                               ;   in Loop: Header=BB167_3 Depth=1
	s_or_b32 exec_lo, exec_lo, s6
	s_delay_alu instid0(VALU_DEP_2)
	v_lshl_add_u32 v6, v44, 2, v43
	v_add_nc_u32_e32 v50, v44, v41
	s_mov_b32 s6, exec_lo
	ds_load_b32 v49, v6
	s_waitcnt lgkmcnt(0)
	v_cmp_lt_f32_e32 vcc_lo, v49, v38
	v_cndmask_b32_e64 v43, -2, 2, vcc_lo
	v_cndmask_b32_e32 v44, v47, v49, vcc_lo
	s_delay_alu instid0(VALU_DEP_2)
	v_lshl_add_u32 v6, v43, 2, v6
	v_add_nc_u32_e32 v46, v43, v50
	ds_load_b32 v39, v6
	v_dual_mov_b32 v41, v46 :: v_dual_mov_b32 v48, -1
	v_cndmask_b32_e32 v43, v45, v50, vcc_lo
	s_waitcnt lgkmcnt(0)
	v_cmpx_lt_f32_e32 v39, v38
; %bb.62:                               ;   in Loop: Header=BB167_3 Depth=1
	v_dual_cndmask_b32 v40, v49, v40 :: v_dual_cndmask_b32 v41, v50, v42
	v_dual_mov_b32 v48, 1 :: v_dual_mov_b32 v43, v46
	s_delay_alu instid0(VALU_DEP_2)
	v_dual_mov_b32 v44, v39 :: v_dual_mov_b32 v39, v40
; %bb.63:                               ;   in Loop: Header=BB167_3 Depth=1
	s_or_b32 exec_lo, exec_lo, s6
	s_delay_alu instid0(VALU_DEP_2)
	v_lshl_add_u32 v6, v48, 2, v6
	v_add_nc_u32_e32 v40, v48, v46
	s_mov_b32 s5, exec_lo
	ds_load_b32 v42, v6
                                        ; implicit-def: $vgpr6
	s_waitcnt lgkmcnt(0)
	v_cmpx_nlt_f32_e32 v42, v38
	s_xor_b32 s5, exec_lo, s5
; %bb.64:                               ;   in Loop: Header=BB167_3 Depth=1
	v_add_f32_e32 v6, v44, v42
                                        ; implicit-def: $vgpr39
                                        ; implicit-def: $vgpr42
                                        ; implicit-def: $vgpr41
	s_delay_alu instid0(VALU_DEP_1) | instskip(NEXT) | instid1(VALU_DEP_1)
	v_mul_f32_e32 v6, 0.5, v6
	v_cmp_gt_f32_e32 vcc_lo, v6, v38
                                        ; implicit-def: $vgpr38
	v_cndmask_b32_e32 v6, v40, v43, vcc_lo
                                        ; implicit-def: $vgpr40
; %bb.65:                               ;   in Loop: Header=BB167_3 Depth=1
	s_and_not1_saveexec_b32 s5, s5
; %bb.66:                               ;   in Loop: Header=BB167_3 Depth=1
	v_add_f32_e32 v6, v39, v42
	s_delay_alu instid0(VALU_DEP_1) | instskip(NEXT) | instid1(VALU_DEP_1)
	v_mul_f32_e32 v6, 0.5, v6
	v_cmp_lt_f32_e32 vcc_lo, v6, v38
	v_cndmask_b32_e32 v6, v40, v41, vcc_lo
; %bb.67:                               ;   in Loop: Header=BB167_3 Depth=1
	s_or_b32 exec_lo, exec_lo, s5
	v_lshlrev_b32_e32 v38, 2, v5
	s_mov_b32 s5, exec_lo
	s_delay_alu instid0(VALU_DEP_1) | instskip(SKIP_3) | instid1(VALU_DEP_1)
	v_mad_u32_u24 v38, 0x404, v7, v38
	ds_load_b32 v38, v38
	s_waitcnt lgkmcnt(0)
	v_xor_b32_e32 v38, v38, v36
	v_cmpx_gt_i32_e32 0, v38
	s_cbranch_execz .LBB167_73
; %bb.68:                               ;   in Loop: Header=BB167_3 Depth=1
	s_mov_b32 s6, exec_lo
	v_cmpx_nlt_f32_e32 0, v36
	s_xor_b32 s6, exec_lo, s6
; %bb.69:                               ;   in Loop: Header=BB167_3 Depth=1
	v_add_nc_u16 v5, v5, -1
; %bb.70:                               ;   in Loop: Header=BB167_3 Depth=1
	s_and_not1_saveexec_b32 s6, s6
; %bb.71:                               ;   in Loop: Header=BB167_3 Depth=1
	s_delay_alu instid0(VALU_DEP_1)
	v_add_nc_u16 v5, v5, 1
; %bb.72:                               ;   in Loop: Header=BB167_3 Depth=1
	s_or_b32 exec_lo, exec_lo, s6
.LBB167_73:                             ;   in Loop: Header=BB167_3 Depth=1
	s_delay_alu instid0(SALU_CYCLE_1) | instskip(SKIP_3) | instid1(VALU_DEP_3)
	s_or_b32 exec_lo, exec_lo, s5
	v_div_scale_f32 v36, null, v37, v37, v35
	v_div_scale_f32 v40, vcc_lo, v35, v37, v35
	v_mov_b32_e32 v43, -16
	v_rcp_f32_e32 v38, v36
	s_mov_b32 s23, exec_lo
	s_waitcnt_depctr 0xfff
	v_fma_f32 v39, -v36, v38, 1.0
	s_delay_alu instid0(VALU_DEP_1) | instskip(NEXT) | instid1(VALU_DEP_1)
	v_fmac_f32_e32 v38, v39, v38
	v_mul_f32_e32 v39, v40, v38
	s_delay_alu instid0(VALU_DEP_1) | instskip(NEXT) | instid1(VALU_DEP_1)
	v_fma_f32 v41, -v36, v39, v40
	v_fmac_f32_e32 v39, v41, v38
	s_delay_alu instid0(VALU_DEP_1) | instskip(NEXT) | instid1(VALU_DEP_1)
	v_fma_f32 v36, -v36, v39, v40
	v_div_fmas_f32 v36, v36, v38, v39
	s_delay_alu instid0(VALU_DEP_1) | instskip(NEXT) | instid1(VALU_DEP_1)
	v_div_fixup_f32 v36, v36, v37, v35
	v_cmp_lt_f32_e32 vcc_lo, v2, v36
	v_cndmask_b32_e64 v37, 0, 1, vcc_lo
	v_cndmask_b32_e64 v41, 63, 0xbf, vcc_lo
	v_cndmask_b32_e32 v45, -1.0, v2, vcc_lo
	s_delay_alu instid0(VALU_DEP_3) | instskip(NEXT) | instid1(VALU_DEP_1)
	v_lshlrev_b32_e32 v37, 1, v37
	v_cmp_eq_u32_e64 s5, 1, v37
	s_delay_alu instid0(VALU_DEP_1) | instskip(SKIP_1) | instid1(VALU_DEP_1)
	v_cndmask_b32_e64 v38, v1, v2, s5
	v_cmp_eq_u32_e64 s5, 2, v37
	v_cndmask_b32_e64 v42, v38, v18, s5
	v_cndmask_b32_e64 v38, 0, 0x7f, vcc_lo
	s_delay_alu instid0(VALU_DEP_2) | instskip(NEXT) | instid1(VALU_DEP_1)
	v_cmp_lt_f32_e64 s5, v42, v36
	v_cndmask_b32_e64 v37, 0xffffffe0, 32, s5
	s_delay_alu instid0(VALU_DEP_3) | instskip(SKIP_1) | instid1(VALU_DEP_3)
	v_cndmask_b32_e64 v44, v38, v41, s5
	v_cndmask_b32_e64 v45, v45, v42, s5
	v_add_nc_u32_e32 v40, v37, v41
	s_delay_alu instid0(VALU_DEP_1)
	v_mov_b32_e32 v38, v40
	v_lshl_add_u32 v39, v40, 2, v15
	ds_load_b32 v37, v39
	s_waitcnt lgkmcnt(0)
	v_cmpx_lt_f32_e32 v37, v36
; %bb.74:                               ;   in Loop: Header=BB167_3 Depth=1
	v_cndmask_b32_e64 v38, v2, 1.0, vcc_lo
	v_dual_cndmask_b32 v43, 0x7f, v34 :: v_dual_mov_b32 v44, v40
	v_mov_b32_e32 v45, v37
	s_delay_alu instid0(VALU_DEP_3) | instskip(NEXT) | instid1(VALU_DEP_3)
	v_cndmask_b32_e64 v42, v42, v38, s5
	v_cndmask_b32_e64 v38, v41, v43, s5
	v_mov_b32_e32 v43, 16
	s_delay_alu instid0(VALU_DEP_3)
	v_mov_b32_e32 v37, v42
; %bb.75:                               ;   in Loop: Header=BB167_3 Depth=1
	s_or_b32 exec_lo, exec_lo, s23
	s_delay_alu instid0(VALU_DEP_2)
	v_lshl_add_u32 v39, v43, 2, v39
	v_dual_mov_b32 v43, -4 :: v_dual_add_nc_u32 v48, v43, v40
	s_mov_b32 s6, exec_lo
	ds_load_b32 v47, v39
	s_waitcnt lgkmcnt(0)
	v_cmp_lt_f32_e32 vcc_lo, v47, v36
	v_cndmask_b32_e64 v41, -8, 8, vcc_lo
	v_cndmask_b32_e32 v44, v44, v48, vcc_lo
	s_delay_alu instid0(VALU_DEP_2)
	v_lshl_add_u32 v42, v41, 2, v39
	v_add_nc_u32_e32 v40, v41, v48
	v_cndmask_b32_e32 v46, v45, v47, vcc_lo
	ds_load_b32 v39, v42
	v_mov_b32_e32 v41, v40
	s_waitcnt lgkmcnt(0)
	v_cmpx_lt_f32_e32 v39, v36
; %bb.76:                               ;   in Loop: Header=BB167_3 Depth=1
	v_dual_cndmask_b32 v37, v47, v37 :: v_dual_mov_b32 v44, v40
	v_dual_cndmask_b32 v41, v48, v38 :: v_dual_mov_b32 v46, v39
	v_mov_b32_e32 v43, 4
	s_delay_alu instid0(VALU_DEP_3)
	v_mov_b32_e32 v39, v37
; %bb.77:                               ;   in Loop: Header=BB167_3 Depth=1
	s_or_b32 exec_lo, exec_lo, s6
	s_delay_alu instid0(VALU_DEP_2)
	v_lshl_add_u32 v37, v43, 2, v42
	v_add_nc_u32_e32 v49, v43, v40
	s_mov_b32 s6, exec_lo
	ds_load_b32 v48, v37
	s_waitcnt lgkmcnt(0)
	v_cmp_lt_f32_e32 vcc_lo, v48, v36
	v_cndmask_b32_e64 v42, -2, 2, vcc_lo
	v_cndmask_b32_e32 v43, v46, v48, vcc_lo
	s_delay_alu instid0(VALU_DEP_2)
	v_lshl_add_u32 v37, v42, 2, v37
	v_add_nc_u32_e32 v45, v42, v49
	ds_load_b32 v38, v37
	v_dual_mov_b32 v40, v45 :: v_dual_mov_b32 v47, -1
	v_cndmask_b32_e32 v42, v44, v49, vcc_lo
	s_waitcnt lgkmcnt(0)
	v_cmpx_lt_f32_e32 v38, v36
; %bb.78:                               ;   in Loop: Header=BB167_3 Depth=1
	v_dual_cndmask_b32 v39, v48, v39 :: v_dual_cndmask_b32 v40, v49, v41
	v_dual_mov_b32 v47, 1 :: v_dual_mov_b32 v42, v45
	s_delay_alu instid0(VALU_DEP_2)
	v_dual_mov_b32 v43, v38 :: v_dual_mov_b32 v38, v39
; %bb.79:                               ;   in Loop: Header=BB167_3 Depth=1
	s_or_b32 exec_lo, exec_lo, s6
	s_delay_alu instid0(VALU_DEP_2)
	v_lshl_add_u32 v37, v47, 2, v37
	v_add_nc_u32_e32 v39, v47, v45
	s_mov_b32 s5, exec_lo
	ds_load_b32 v41, v37
                                        ; implicit-def: $vgpr37
	s_waitcnt lgkmcnt(0)
	v_cmpx_nlt_f32_e32 v41, v36
	s_xor_b32 s5, exec_lo, s5
; %bb.80:                               ;   in Loop: Header=BB167_3 Depth=1
	v_add_f32_e32 v37, v43, v41
                                        ; implicit-def: $vgpr38
                                        ; implicit-def: $vgpr41
                                        ; implicit-def: $vgpr40
	s_delay_alu instid0(VALU_DEP_1) | instskip(NEXT) | instid1(VALU_DEP_1)
	v_mul_f32_e32 v37, 0.5, v37
	v_cmp_gt_f32_e32 vcc_lo, v37, v36
                                        ; implicit-def: $vgpr36
	v_cndmask_b32_e32 v37, v39, v42, vcc_lo
                                        ; implicit-def: $vgpr39
; %bb.81:                               ;   in Loop: Header=BB167_3 Depth=1
	s_and_not1_saveexec_b32 s5, s5
; %bb.82:                               ;   in Loop: Header=BB167_3 Depth=1
	v_add_f32_e32 v37, v38, v41
	s_delay_alu instid0(VALU_DEP_1) | instskip(NEXT) | instid1(VALU_DEP_1)
	v_mul_f32_e32 v37, 0.5, v37
	v_cmp_lt_f32_e32 vcc_lo, v37, v36
	v_cndmask_b32_e32 v37, v39, v40, vcc_lo
; %bb.83:                               ;   in Loop: Header=BB167_3 Depth=1
	s_or_b32 exec_lo, exec_lo, s5
	s_delay_alu instid0(VALU_DEP_1) | instskip(NEXT) | instid1(VALU_DEP_1)
	v_lshlrev_b32_e32 v36, 2, v37
	v_mad_u32_u24 v36, 0x404, v7, v36
	ds_load_b32 v36, v36
	s_waitcnt lgkmcnt(0)
	s_waitcnt_vscnt null, 0x0
	s_barrier
	buffer_gl0_inv
	ds_store_b8 v17, v5 offset:4128
	; wave barrier
	s_and_saveexec_b32 s5, s4
	s_cbranch_execz .LBB167_85
; %bb.84:                               ;   in Loop: Header=BB167_3 Depth=1
	ds_load_u8 v5, v17 offset:4128
	v_add_co_u32 v38, s6, s9, v8
	s_delay_alu instid0(VALU_DEP_1) | instskip(NEXT) | instid1(VALU_DEP_2)
	v_add_co_ci_u32_e64 v39, null, s10, 0, s6
	v_add_co_u32 v38, vcc_lo, v38, v9
	s_delay_alu instid0(VALU_DEP_2)
	v_add_co_ci_u32_e32 v39, vcc_lo, 0, v39, vcc_lo
	s_waitcnt lgkmcnt(0)
	global_store_b8 v[38:39], v5, off
.LBB167_85:                             ;   in Loop: Header=BB167_3 Depth=1
	s_or_b32 exec_lo, exec_lo, s5
	s_waitcnt lgkmcnt(0)
	s_waitcnt_vscnt null, 0x0
	s_barrier
	buffer_gl0_inv
	ds_store_b8 v17, v6 offset:4128
	; wave barrier
	s_and_saveexec_b32 s5, s4
	s_cbranch_execz .LBB167_87
; %bb.86:                               ;   in Loop: Header=BB167_3 Depth=1
	ds_load_u8 v38, v17 offset:4128
	v_add_co_u32 v5, s6, s11, v8
	s_delay_alu instid0(VALU_DEP_1) | instskip(NEXT) | instid1(VALU_DEP_2)
	v_add_co_ci_u32_e64 v6, null, s12, 0, s6
	v_add_co_u32 v5, vcc_lo, v5, v9
	s_delay_alu instid0(VALU_DEP_2)
	v_add_co_ci_u32_e32 v6, vcc_lo, 0, v6, vcc_lo
	s_waitcnt lgkmcnt(0)
	global_store_b8 v[5:6], v38, off
.LBB167_87:                             ;   in Loop: Header=BB167_3 Depth=1
	s_or_b32 exec_lo, exec_lo, s5
	v_xor_b32_e32 v5, v36, v35
	v_cmp_lt_f32_e32 vcc_lo, 0, v35
	s_waitcnt lgkmcnt(0)
	s_waitcnt_vscnt null, 0x0
	s_barrier
	buffer_gl0_inv
	v_ashrrev_i32_e32 v5, 31, v5
	v_cndmask_b32_e64 v6, -1, 1, vcc_lo
	s_delay_alu instid0(VALU_DEP_1) | instskip(NEXT) | instid1(VALU_DEP_1)
	v_and_b32_e32 v5, v5, v6
	v_add_nc_u16 v5, v5, v37
	ds_store_b8 v17, v5 offset:4128
	; wave barrier
	s_and_saveexec_b32 s5, s4
	s_cbranch_execz .LBB167_2
; %bb.88:                               ;   in Loop: Header=BB167_3 Depth=1
	ds_load_u8 v35, v17 offset:4128
	v_add_co_u32 v5, s4, s14, v8
	s_delay_alu instid0(VALU_DEP_1) | instskip(NEXT) | instid1(VALU_DEP_2)
	v_add_co_ci_u32_e64 v6, null, s15, 0, s4
	v_add_co_u32 v5, vcc_lo, v5, v9
	s_delay_alu instid0(VALU_DEP_2)
	v_add_co_ci_u32_e32 v6, vcc_lo, 0, v6, vcc_lo
	s_waitcnt lgkmcnt(0)
	global_store_b8 v[5:6], v35, off
	s_branch .LBB167_2
.LBB167_89:
	s_nop 0
	s_sendmsg sendmsg(MSG_DEALLOC_VGPRS)
	s_endpgm
	.section	.rodata,"a",@progbits
	.p2align	6, 0x0
	.amdhsa_kernel _Z35kOptimizerStatic8bit2StateBlockwiseI12hip_bfloat16Li6ELi256ELi1EEvPT_S2_PhS3_fffffifPfS4_S4_S4_ffbi
		.amdhsa_group_segment_fixed_size 4736
		.amdhsa_private_segment_fixed_size 0
		.amdhsa_kernarg_size 368
		.amdhsa_user_sgpr_count 15
		.amdhsa_user_sgpr_dispatch_ptr 0
		.amdhsa_user_sgpr_queue_ptr 0
		.amdhsa_user_sgpr_kernarg_segment_ptr 1
		.amdhsa_user_sgpr_dispatch_id 0
		.amdhsa_user_sgpr_private_segment_size 0
		.amdhsa_wavefront_size32 1
		.amdhsa_uses_dynamic_stack 0
		.amdhsa_enable_private_segment 0
		.amdhsa_system_sgpr_workgroup_id_x 1
		.amdhsa_system_sgpr_workgroup_id_y 0
		.amdhsa_system_sgpr_workgroup_id_z 0
		.amdhsa_system_sgpr_workgroup_info 0
		.amdhsa_system_vgpr_workitem_id 0
		.amdhsa_next_free_vgpr 53
		.amdhsa_next_free_sgpr 42
		.amdhsa_reserve_vcc 1
		.amdhsa_float_round_mode_32 0
		.amdhsa_float_round_mode_16_64 0
		.amdhsa_float_denorm_mode_32 3
		.amdhsa_float_denorm_mode_16_64 3
		.amdhsa_dx10_clamp 1
		.amdhsa_ieee_mode 1
		.amdhsa_fp16_overflow 0
		.amdhsa_workgroup_processor_mode 1
		.amdhsa_memory_ordered 1
		.amdhsa_forward_progress 0
		.amdhsa_shared_vgpr_count 0
		.amdhsa_exception_fp_ieee_invalid_op 0
		.amdhsa_exception_fp_denorm_src 0
		.amdhsa_exception_fp_ieee_div_zero 0
		.amdhsa_exception_fp_ieee_overflow 0
		.amdhsa_exception_fp_ieee_underflow 0
		.amdhsa_exception_fp_ieee_inexact 0
		.amdhsa_exception_int_div_zero 0
	.end_amdhsa_kernel
	.section	.text._Z35kOptimizerStatic8bit2StateBlockwiseI12hip_bfloat16Li6ELi256ELi1EEvPT_S2_PhS3_fffffifPfS4_S4_S4_ffbi,"axG",@progbits,_Z35kOptimizerStatic8bit2StateBlockwiseI12hip_bfloat16Li6ELi256ELi1EEvPT_S2_PhS3_fffffifPfS4_S4_S4_ffbi,comdat
.Lfunc_end167:
	.size	_Z35kOptimizerStatic8bit2StateBlockwiseI12hip_bfloat16Li6ELi256ELi1EEvPT_S2_PhS3_fffffifPfS4_S4_S4_ffbi, .Lfunc_end167-_Z35kOptimizerStatic8bit2StateBlockwiseI12hip_bfloat16Li6ELi256ELi1EEvPT_S2_PhS3_fffffifPfS4_S4_S4_ffbi
                                        ; -- End function
	.section	.AMDGPU.csdata,"",@progbits
; Kernel info:
; codeLenInByte = 7832
; NumSgprs: 44
; NumVgprs: 53
; ScratchSize: 0
; MemoryBound: 0
; FloatMode: 240
; IeeeMode: 1
; LDSByteSize: 4736 bytes/workgroup (compile time only)
; SGPRBlocks: 5
; VGPRBlocks: 6
; NumSGPRsForWavesPerEU: 44
; NumVGPRsForWavesPerEU: 53
; Occupancy: 16
; WaveLimiterHint : 0
; COMPUTE_PGM_RSRC2:SCRATCH_EN: 0
; COMPUTE_PGM_RSRC2:USER_SGPR: 15
; COMPUTE_PGM_RSRC2:TRAP_HANDLER: 0
; COMPUTE_PGM_RSRC2:TGID_X_EN: 1
; COMPUTE_PGM_RSRC2:TGID_Y_EN: 0
; COMPUTE_PGM_RSRC2:TGID_Z_EN: 0
; COMPUTE_PGM_RSRC2:TIDIG_COMP_CNT: 0
	.section	.text._Z35kOptimizerStatic8bit1StateBlockwiseIfLi1ELi256ELi1EEvPT_S1_PhfffifPfS3_ffbi,"axG",@progbits,_Z35kOptimizerStatic8bit1StateBlockwiseIfLi1ELi256ELi1EEvPT_S1_PhfffifPfS3_ffbi,comdat
